;; amdgpu-corpus repo=ROCm/rocFFT kind=compiled arch=gfx1201 opt=O3
	.text
	.amdgcn_target "amdgcn-amd-amdhsa--gfx1201"
	.amdhsa_code_object_version 6
	.protected	bluestein_single_fwd_len2016_dim1_sp_op_CI_CI ; -- Begin function bluestein_single_fwd_len2016_dim1_sp_op_CI_CI
	.globl	bluestein_single_fwd_len2016_dim1_sp_op_CI_CI
	.p2align	8
	.type	bluestein_single_fwd_len2016_dim1_sp_op_CI_CI,@function
bluestein_single_fwd_len2016_dim1_sp_op_CI_CI: ; @bluestein_single_fwd_len2016_dim1_sp_op_CI_CI
; %bb.0:
	s_load_b128 s[16:19], s[0:1], 0x28
	v_mul_u32_u24_e32 v1, 0x24a, v0
	v_mov_b32_e32 v101, 0
	s_mov_b32 s2, exec_lo
	s_delay_alu instid0(VALU_DEP_2) | instskip(NEXT) | instid1(VALU_DEP_1)
	v_lshrrev_b32_e32 v1, 16, v1
	v_lshl_add_u32 v100, ttmp9, 1, v1
	s_wait_kmcnt 0x0
	s_delay_alu instid0(VALU_DEP_1)
	v_cmpx_gt_u64_e64 s[16:17], v[100:101]
	s_cbranch_execz .LBB0_10
; %bb.1:
	s_clause 0x1
	s_load_b128 s[4:7], s[0:1], 0x18
	s_load_b128 s[8:11], s[0:1], 0x0
	v_mul_lo_u16 v2, 0x70, v1
	s_movk_i32 s2, 0xe400
	s_mov_b32 s3, -1
                                        ; implicit-def: $vgpr161
                                        ; implicit-def: $vgpr159
	s_delay_alu instid0(VALU_DEP_1)
	v_sub_nc_u16 v10, v0, v2
	s_wait_kmcnt 0x0
	s_load_b128 s[12:15], s[4:5], 0x0
	s_wait_kmcnt 0x0
	v_mad_co_u64_u32 v[2:3], null, s14, v100, 0
	v_and_b32_e32 v165, 0xffff, v10
	s_mul_u64 s[4:5], s[12:13], 0x1f80
	s_mul_u64 s[2:3], s[12:13], s[2:3]
	s_delay_alu instid0(VALU_DEP_2) | instskip(NEXT) | instid1(VALU_DEP_2)
	v_mov_b32_e32 v0, v3
	v_mad_co_u64_u32 v[4:5], null, s12, v165, 0
	v_or_b32_e32 v163, 0x700, v165
	v_or_b32_e32 v164, 0x380, v165
	s_delay_alu instid0(VALU_DEP_4) | instskip(NEXT) | instid1(VALU_DEP_3)
	v_mad_co_u64_u32 v[8:9], null, s15, v100, v[0:1]
	v_mad_co_u64_u32 v[6:7], null, s12, v163, 0
	v_mov_b32_e32 v3, v5
	v_lshlrev_b32_e32 v11, 3, v165
	v_mad_co_u64_u32 v[12:13], null, s12, v164, 0
	s_delay_alu instid0(VALU_DEP_3)
	v_mad_co_u64_u32 v[14:15], null, s13, v165, v[3:4]
	v_dual_mov_b32 v0, v7 :: v_dual_mov_b32 v3, v8
	s_clause 0x2
	global_load_b64 v[129:130], v11, s[8:9]
	global_load_b64 v[117:118], v11, s[8:9] offset:9856
	global_load_b64 v[101:102], v11, s[8:9] offset:14336
	v_mov_b32_e32 v7, v13
	s_clause 0x2
	global_load_b64 v[131:132], v11, s[8:9] offset:8960
	global_load_b64 v[133:134], v11, s[8:9] offset:8064
	;; [unrolled: 1-line block ×3, first 2 shown]
	v_mad_co_u64_u32 v[8:9], null, s13, v163, v[0:1]
	v_mov_b32_e32 v5, v14
	v_lshlrev_b64_e32 v[2:3], 3, v[2:3]
	s_delay_alu instid0(VALU_DEP_2) | instskip(NEXT) | instid1(VALU_DEP_2)
	v_lshlrev_b64_e32 v[4:5], 3, v[4:5]
	v_add_co_u32 v0, vcc_lo, s18, v2
	s_delay_alu instid0(VALU_DEP_3) | instskip(SKIP_1) | instid1(VALU_DEP_3)
	v_add_co_ci_u32_e32 v22, vcc_lo, s19, v3, vcc_lo
	v_mad_co_u64_u32 v[2:3], null, s13, v164, v[7:8]
	v_add_co_u32 v3, vcc_lo, v0, v4
	s_wait_alu 0xfffd
	s_delay_alu instid0(VALU_DEP_3) | instskip(SKIP_1) | instid1(VALU_DEP_3)
	v_add_co_ci_u32_e32 v4, vcc_lo, v22, v5, vcc_lo
	v_mov_b32_e32 v7, v8
	v_add_co_u32 v8, vcc_lo, v3, s4
	s_wait_alu 0xfffd
	s_delay_alu instid0(VALU_DEP_3) | instskip(NEXT) | instid1(VALU_DEP_3)
	v_add_co_ci_u32_e32 v9, vcc_lo, s5, v4, vcc_lo
	v_lshlrev_b64_e32 v[5:6], 3, v[6:7]
	s_delay_alu instid0(VALU_DEP_3) | instskip(SKIP_1) | instid1(VALU_DEP_3)
	v_add_co_u32 v14, vcc_lo, v8, s2
	s_wait_alu 0xfffd
	v_add_co_ci_u32_e32 v15, vcc_lo, s3, v9, vcc_lo
	v_mov_b32_e32 v13, v2
	s_delay_alu instid0(VALU_DEP_3) | instskip(SKIP_1) | instid1(VALU_DEP_3)
	v_add_co_u32 v16, vcc_lo, v14, s4
	s_wait_alu 0xfffd
	v_add_co_ci_u32_e32 v17, vcc_lo, s5, v15, vcc_lo
	s_delay_alu instid0(VALU_DEP_3) | instskip(NEXT) | instid1(VALU_DEP_3)
	v_lshlrev_b64_e32 v[12:13], 3, v[12:13]
	v_add_co_u32 v18, vcc_lo, v16, s2
	s_wait_alu 0xfffd
	s_delay_alu instid0(VALU_DEP_3)
	v_add_co_ci_u32_e32 v19, vcc_lo, s3, v17, vcc_lo
	v_add_co_u32 v5, vcc_lo, v0, v5
	s_wait_alu 0xfffd
	v_add_co_ci_u32_e32 v6, vcc_lo, v22, v6, vcc_lo
	v_add_co_u32 v20, vcc_lo, v18, s4
	s_wait_alu 0xfffd
	;; [unrolled: 3-line block ×4, first 2 shown]
	v_add_co_ci_u32_e32 v23, vcc_lo, s3, v21, vcc_lo
	global_load_b64 v[2:3], v[3:4], off
	v_add_co_u32 v24, vcc_lo, v22, s4
	s_wait_alu 0xfffd
	v_add_co_ci_u32_e32 v25, vcc_lo, s5, v23, vcc_lo
	s_clause 0x1
	global_load_b64 v[4:5], v[5:6], off
	global_load_b64 v[6:7], v[12:13], off
	v_add_co_u32 v12, vcc_lo, v24, s2
	s_wait_alu 0xfffd
	v_add_co_ci_u32_e32 v13, vcc_lo, s3, v25, vcc_lo
	s_clause 0x1
	global_load_b64 v[8:9], v[8:9], off
	global_load_b64 v[26:27], v[14:15], off
	v_add_co_u32 v14, vcc_lo, v12, s4
	s_wait_alu 0xfffd
	v_add_co_ci_u32_e32 v15, vcc_lo, s5, v13, vcc_lo
	s_clause 0x2
	global_load_b64 v[135:136], v11, s[8:9] offset:896
	global_load_b64 v[123:124], v11, s[8:9] offset:1792
	;; [unrolled: 1-line block ×3, first 2 shown]
	v_add_co_u32 v28, vcc_lo, v14, s2
	s_wait_alu 0xfffd
	v_add_co_ci_u32_e32 v29, vcc_lo, s3, v15, vcc_lo
	s_clause 0x1
	global_load_b64 v[30:31], v[16:17], off
	global_load_b64 v[32:33], v[18:19], off
	v_add_co_u32 v16, vcc_lo, v28, s4
	s_wait_alu 0xfffd
	v_add_co_ci_u32_e32 v17, vcc_lo, s5, v29, vcc_lo
	global_load_b64 v[34:35], v[20:21], off
	v_add_co_u32 v18, vcc_lo, v16, s2
	s_wait_alu 0xfffd
	v_add_co_ci_u32_e32 v19, vcc_lo, s3, v17, vcc_lo
	;; [unrolled: 4-line block ×4, first 2 shown]
	s_clause 0x1
	global_load_b64 v[127:128], v11, s[8:9] offset:10752
	global_load_b64 v[125:126], v11, s[8:9] offset:3584
	global_load_b64 v[38:39], v[12:13], off
	global_load_b64 v[119:120], v11, s[8:9] offset:11648
	global_load_b64 v[40:41], v[14:15], off
	;; [unrolled: 2-line block ×4, first 2 shown]
	v_mad_co_u64_u32 v[12:13], null, 0x2300, s12, v[22:23]
	s_delay_alu instid0(VALU_DEP_1) | instskip(NEXT) | instid1(VALU_DEP_1)
	v_dual_mov_b32 v0, v13 :: v_dual_and_b32 v67, 1, v165
	v_mad_co_u64_u32 v[13:14], null, 0x2300, s13, v[0:1]
	global_load_b64 v[111:112], v11, s[8:9] offset:5376
	global_load_b64 v[46:47], v[18:19], off
	global_load_b64 v[109:110], v11, s[8:9] offset:13440
	global_load_b64 v[48:49], v[20:21], off
	;; [unrolled: 2-line block ×4, first 2 shown]
	v_and_b32_e32 v0, 1, v1
	s_load_b128 s[4:7], s[6:7], 0x0
	v_add_co_u32 v21, null, 0x150, v165
	v_add_co_u32 v23, null, 0x230, v165
	s_delay_alu instid0(VALU_DEP_3)
	v_cmp_eq_u32_e32 vcc_lo, 1, v0
	v_add_co_u32 v20, null, 0x70, v165
	v_add_co_u32 v12, null, 0xe0, v165
	s_wait_alu 0xfffd
	v_cndmask_b32_e64 v0, 0, 0x7e0, vcc_lo
	v_add_co_u32 v22, null, 0x1c0, v165
	v_cmp_gt_u16_e32 vcc_lo, 0x60, v10
	s_delay_alu instid0(VALU_DEP_3)
	v_lshlrev_b32_e32 v223, 3, v0
	s_wait_loadcnt 0x1d
	v_dual_mul_f32 v1, v3, v130 :: v_dual_lshlrev_b32 v0, 1, v165
	v_mul_f32_e32 v29, v2, v130
	s_wait_loadcnt 0x1c
	v_mul_f32_e32 v55, v4, v102
	v_mul_f32_e32 v54, v5, v102
	v_dual_fmac_f32 v1, v2, v129 :: v_dual_add_nc_u32 v166, v223, v11
	s_wait_loadcnt 0x1b
	v_mul_f32_e32 v56, v7, v104
	v_fma_f32 v55, v5, v101, -v55
	v_mul_f32_e32 v57, v6, v104
	v_add_nc_u32_e32 v15, 0x400, v166
	s_wait_loadcnt 0x18
	v_dual_mul_f32 v5, v27, v136 :: v_dual_add_nc_u32 v14, 0x1800, v166
	v_dual_mul_f32 v58, v26, v136 :: v_dual_add_nc_u32 v13, 0x2000, v166
	v_fmac_f32_e32 v54, v4, v101
	s_delay_alu instid0(VALU_DEP_3) | instskip(SKIP_1) | instid1(VALU_DEP_4)
	v_dual_fmac_f32 v5, v26, v135 :: v_dual_add_nc_u32 v28, 0x1400, v166
	v_dual_fmac_f32 v56, v6, v103 :: v_dual_add_nc_u32 v19, 0x2800, v166
	v_fma_f32 v6, v27, v135, -v58
	v_add_nc_u32_e32 v17, 0x3800, v166
	v_fma_f32 v57, v7, v103, -v57
	s_wait_loadcnt 0x15
	v_dual_mul_f32 v7, v31, v132 :: v_dual_add_nc_u32 v16, 0xc00, v166
	v_add_nc_u32_e32 v18, 0x3000, v166
	v_lshl_add_u32 v167, v165, 4, v223
	v_lshl_add_u32 v170, v20, 4, v223
	s_delay_alu instid0(VALU_DEP_4)
	v_fmac_f32_e32 v7, v30, v131
	v_lshl_add_u32 v169, v12, 4, v223
	v_lshl_add_u32 v168, v21, 4, v223
	;; [unrolled: 1-line block ×5, first 2 shown]
	s_wait_loadcnt 0x10
	v_mul_f32_e32 v26, v25, v128
	v_fma_f32 v2, v3, v129, -v29
	v_mul_f32_e32 v3, v9, v134
	v_mul_f32_e32 v29, v8, v134
	s_delay_alu instid0(VALU_DEP_4) | instskip(NEXT) | instid1(VALU_DEP_3)
	v_fmac_f32_e32 v26, v24, v127
	v_fmac_f32_e32 v3, v8, v133
	s_delay_alu instid0(VALU_DEP_3)
	v_fma_f32 v4, v9, v133, -v29
	v_mul_f32_e32 v8, v30, v132
	ds_store_b64 v166, v[3:4] offset:8064
	ds_store_2addr_b64 v166, v[1:2], v[5:6] offset1:112
	v_mul_f32_e32 v1, v33, v124
	v_dual_mul_f32 v2, v32, v124 :: v_dual_mul_f32 v3, v35, v118
	v_mul_f32_e32 v4, v34, v118
	v_mul_f32_e32 v5, v37, v122
	v_mul_f32_e32 v6, v36, v122
	v_fma_f32 v8, v31, v131, -v8
	v_fma_f32 v2, v33, v123, -v2
	v_fmac_f32_e32 v3, v34, v117
	v_fma_f32 v4, v35, v117, -v4
	v_fmac_f32_e32 v5, v36, v121
	v_fma_f32 v6, v37, v121, -v6
	v_mul_f32_e32 v9, v24, v128
	s_wait_loadcnt 0x0
	v_mul_f32_e32 v34, v52, v106
	v_dual_fmac_f32 v1, v32, v123 :: v_dual_mul_f32 v32, v50, v108
	v_mul_f32_e32 v29, v49, v110
	v_fma_f32 v27, v25, v127, -v9
	v_mul_f32_e32 v9, v46, v112
	ds_store_2addr_b64 v15, v[1:2], v[5:6] offset0:96 offset1:208
	v_mul_f32_e32 v2, v38, v126
	v_mul_f32_e32 v6, v40, v120
	ds_store_2addr_b64 v13, v[7:8], v[3:4] offset0:96 offset1:208
	v_dual_mul_f32 v8, v42, v114 :: v_dual_mul_f32 v1, v41, v120
	v_mul_f32_e32 v3, v39, v126
	v_mul_f32_e32 v5, v43, v114
	v_fma_f32 v4, v39, v125, -v2
	v_fma_f32 v2, v41, v119, -v6
	v_mul_f32_e32 v7, v45, v116
	v_fma_f32 v6, v43, v113, -v8
	v_mul_f32_e32 v8, v44, v116
	v_fma_f32 v25, v47, v111, -v9
	v_dual_mul_f32 v9, v48, v110 :: v_dual_mul_f32 v24, v47, v112
	v_mul_f32_e32 v31, v51, v108
	v_mul_f32_e32 v33, v53, v106
	v_fmac_f32_e32 v1, v40, v119
	v_fmac_f32_e32 v3, v38, v125
	;; [unrolled: 1-line block ×4, first 2 shown]
	v_fma_f32 v8, v45, v115, -v8
	v_fmac_f32_e32 v29, v48, v109
	v_fma_f32 v30, v49, v109, -v9
	v_fmac_f32_e32 v24, v46, v111
	v_fmac_f32_e32 v31, v50, v107
	v_fma_f32 v32, v51, v107, -v32
	v_fmac_f32_e32 v33, v52, v105
	v_fma_f32 v34, v53, v105, -v34
	ds_store_b64 v166, v[56:57] offset:7168
	ds_store_2addr_b64 v19, v[26:27], v[1:2] offset0:64 offset1:176
	ds_store_2addr_b64 v16, v[3:4], v[5:6] offset0:64 offset1:176
	;; [unrolled: 1-line block ×4, first 2 shown]
	ds_store_2addr_b64 v17, v[54:55], v[33:34] offset1:112
	global_wb scope:SCOPE_SE
	s_wait_dscnt 0x0
	s_wait_kmcnt 0x0
	s_barrier_signal -1
	s_barrier_wait -1
	global_inv scope:SCOPE_SE
	ds_load_2addr_b64 v[3:6], v166 offset1:112
	ds_load_2addr_b64 v[24:27], v14 offset0:128 offset1:240
	ds_load_2addr_b64 v[29:32], v13 offset0:96 offset1:208
	;; [unrolled: 1-line block ×7, first 2 shown]
	ds_load_2addr_b64 v[53:56], v17 offset1:112
	v_add_nc_u32_e32 v1, 0x540, v0
	v_add_nc_u32_e32 v2, 0x620, v0
	v_lshlrev_b32_e32 v9, 3, v67
	global_wb scope:SCOPE_SE
	s_wait_dscnt 0x0
	s_barrier_signal -1
	v_lshl_add_u32 v202, v1, 3, v223
	v_lshl_add_u32 v193, v2, 3, v223
	s_barrier_wait -1
	global_inv scope:SCOPE_SE
	v_dual_sub_f32 v57, v3, v26 :: v_dual_sub_f32 v58, v4, v27
	v_dual_sub_f32 v7, v5, v29 :: v_dual_sub_f32 v8, v6, v30
	;; [unrolled: 1-line block ×9, first 2 shown]
	v_fma_f32 v55, v3, 2.0, -v57
	v_fma_f32 v56, v4, 2.0, -v58
	;; [unrolled: 1-line block ×18, first 2 shown]
	ds_store_b128 v167, v[55:58]
	ds_store_b128 v170, v[5:8]
	;; [unrolled: 1-line block ×9, first 2 shown]
	global_wb scope:SCOPE_SE
	s_wait_dscnt 0x0
	s_barrier_signal -1
	s_barrier_wait -1
	global_inv scope:SCOPE_SE
	global_load_b64 v[137:138], v9, s[10:11]
	v_lshlrev_b32_e32 v6, 1, v21
	v_lshlrev_b32_e32 v7, 1, v22
	;; [unrolled: 1-line block ×4, first 2 shown]
	v_and_or_b32 v24, 0xfc, v0, v67
	v_and_or_b32 v33, 0x3fc, v6, v67
	;; [unrolled: 1-line block ×4, first 2 shown]
	v_lshlrev_b32_e32 v5, 1, v12
	v_lshl_add_u32 v200, v24, 3, v223
	v_lshl_add_u32 v189, v33, 3, v223
	;; [unrolled: 1-line block ×4, first 2 shown]
	ds_load_2addr_b64 v[33:36], v19 offset0:64 offset1:176
	v_and_or_b32 v24, 0x1fc, v4, v67
	v_lshlrev_b32_e32 v3, 1, v164
	v_and_or_b32 v29, 0x3fc, v5, v67
	v_and_or_b32 v38, 0x7fc, v2, v67
	s_delay_alu instid0(VALU_DEP_4)
	v_lshl_add_u32 v201, v24, 3, v223
	ds_load_2addr_b64 v[24:27], v14 offset0:128 offset1:240
	v_and_or_b32 v39, 0x7fc, v3, v67
	v_lshl_add_u32 v192, v29, 3, v223
	ds_load_2addr_b64 v[29:32], v13 offset0:96 offset1:208
	v_lshl_add_u32 v176, v38, 3, v223
	v_lshl_add_u32 v173, v39, 3, v223
	s_wait_loadcnt_dscnt 0x2
	v_mul_f32_e32 v70, v36, v138
	v_and_or_b32 v37, 0x7fc, v1, v67
	s_wait_dscnt 0x1
	v_mul_f32_e32 v62, v27, v138
	v_mul_f32_e32 v63, v26, v138
	s_wait_dscnt 0x0
	v_mul_f32_e32 v64, v30, v138
	v_mul_f32_e32 v65, v29, v138
	v_lshl_add_u32 v179, v37, 3, v223
	ds_load_2addr_b64 v[37:40], v18 offset0:32 offset1:144
	ds_load_2addr_b64 v[41:44], v166 offset1:112
	ds_load_2addr_b64 v[45:48], v15 offset0:96 offset1:208
	ds_load_2addr_b64 v[49:52], v16 offset0:64 offset1:176
	ds_load_2addr_b64 v[53:56], v17 offset1:112
	ds_load_2addr_b64 v[57:60], v28 offset0:32 offset1:144
	v_mul_f32_e32 v66, v32, v138
	v_mul_f32_e32 v67, v31, v138
	;; [unrolled: 1-line block ×5, first 2 shown]
	v_fma_f32 v26, v26, v137, -v62
	v_fmac_f32_e32 v63, v27, v137
	v_fma_f32 v29, v29, v137, -v64
	v_fmac_f32_e32 v65, v30, v137
	v_fma_f32 v31, v31, v137, -v66
	v_fmac_f32_e32 v67, v32, v137
	v_fma_f32 v33, v33, v137, -v68
	v_fmac_f32_e32 v69, v34, v137
	v_fma_f32 v35, v35, v137, -v70
	s_wait_dscnt 0x5
	v_mul_f32_e32 v72, v38, v138
	v_mul_f32_e32 v73, v37, v138
	;; [unrolled: 1-line block ×4, first 2 shown]
	s_wait_dscnt 0x1
	v_mul_f32_e32 v76, v54, v138
	v_mul_f32_e32 v77, v53, v138
	;; [unrolled: 1-line block ×4, first 2 shown]
	v_fmac_f32_e32 v71, v36, v137
	v_fma_f32 v37, v37, v137, -v72
	v_fmac_f32_e32 v73, v38, v137
	v_fma_f32 v39, v39, v137, -v74
	;; [unrolled: 2-line block ×4, first 2 shown]
	v_dual_fmac_f32 v79, v56, v137 :: v_dual_sub_f32 v26, v41, v26
	v_sub_f32_e32 v27, v42, v63
	v_sub_f32_e32 v29, v43, v29
	v_dual_sub_f32 v30, v44, v65 :: v_dual_sub_f32 v31, v45, v31
	v_dual_sub_f32 v32, v46, v67 :: v_dual_sub_f32 v33, v47, v33
	v_dual_sub_f32 v34, v48, v69 :: v_dual_sub_f32 v35, v49, v35
	v_dual_sub_f32 v36, v50, v71 :: v_dual_and_b32 v9, 3, v165
	v_dual_sub_f32 v56, v25, v79 :: v_dual_sub_f32 v37, v51, v37
	s_wait_dscnt 0x0
	v_dual_sub_f32 v38, v52, v73 :: v_dual_sub_f32 v39, v57, v39
	v_dual_sub_f32 v40, v58, v75 :: v_dual_sub_f32 v53, v59, v53
	v_sub_f32_e32 v54, v60, v77
	v_sub_f32_e32 v55, v24, v55
	v_fma_f32 v41, v41, 2.0, -v26
	v_fma_f32 v42, v42, 2.0, -v27
	;; [unrolled: 1-line block ×10, first 2 shown]
	global_wb scope:SCOPE_SE
	s_barrier_signal -1
	s_barrier_wait -1
	global_inv scope:SCOPE_SE
	v_fma_f32 v51, v51, 2.0, -v37
	v_fma_f32 v52, v52, 2.0, -v38
	;; [unrolled: 1-line block ×8, first 2 shown]
	ds_store_2addr_b64 v200, v[41:42], v[26:27] offset1:2
	ds_store_2addr_b64 v201, v[43:44], v[29:30] offset1:2
	;; [unrolled: 1-line block ×9, first 2 shown]
	v_and_or_b32 v33, 0x3f8, v6, v9
	v_and_or_b32 v34, 0x7f8, v7, v9
	;; [unrolled: 1-line block ×3, first 2 shown]
	global_wb scope:SCOPE_SE
	s_wait_dscnt 0x0
	s_barrier_signal -1
	s_barrier_wait -1
	global_inv scope:SCOPE_SE
	v_lshl_add_u32 v188, v33, 3, v223
	v_lshl_add_u32 v184, v34, 3, v223
	;; [unrolled: 1-line block ×3, first 2 shown]
	ds_load_2addr_b64 v[33:36], v19 offset0:64 offset1:176
	v_lshlrev_b32_e32 v61, 3, v9
	v_and_or_b32 v24, 0xf8, v0, v9
	v_and_or_b32 v29, 0x3f8, v5, v9
	;; [unrolled: 1-line block ×4, first 2 shown]
	global_load_b64 v[141:142], v61, s[10:11] offset:16
	v_lshl_add_u32 v196, v24, 3, v223
	v_and_or_b32 v24, 0x1f8, v4, v9
	v_lshl_add_u32 v191, v29, 3, v223
	ds_load_2addr_b64 v[29:32], v13 offset0:96 offset1:208
	v_lshl_add_u32 v178, v37, 3, v223
	v_lshl_add_u32 v175, v38, 3, v223
	v_lshl_add_u32 v197, v24, 3, v223
	ds_load_2addr_b64 v[24:27], v14 offset0:128 offset1:240
	ds_load_2addr_b64 v[37:40], v18 offset0:32 offset1:144
	ds_load_2addr_b64 v[41:44], v166 offset1:112
	ds_load_2addr_b64 v[45:48], v15 offset0:96 offset1:208
	ds_load_2addr_b64 v[49:52], v16 offset0:64 offset1:176
	ds_load_2addr_b64 v[53:56], v17 offset1:112
	ds_load_2addr_b64 v[57:60], v28 offset0:32 offset1:144
	v_and_b32_e32 v61, 7, v165
	global_wb scope:SCOPE_SE
	s_wait_loadcnt_dscnt 0x0
	s_barrier_signal -1
	s_barrier_wait -1
	global_inv scope:SCOPE_SE
	v_lshlrev_b32_e32 v62, 3, v61
	v_mul_f32_e32 v66, v32, v142
	v_and_or_b32 v9, 0x7f8, v3, v9
	v_mul_f32_e32 v63, v26, v142
	v_mul_f32_e32 v64, v30, v142
	;; [unrolled: 1-line block ×4, first 2 shown]
	v_lshl_add_u32 v172, v9, 3, v223
	v_mul_f32_e32 v9, v27, v142
	v_mul_f32_e32 v68, v34, v142
	;; [unrolled: 1-line block ×13, first 2 shown]
	v_fma_f32 v9, v26, v141, -v9
	v_fmac_f32_e32 v63, v27, v141
	v_fma_f32 v29, v29, v141, -v64
	v_fmac_f32_e32 v65, v30, v141
	;; [unrolled: 2-line block ×9, first 2 shown]
	v_dual_sub_f32 v26, v41, v9 :: v_dual_sub_f32 v27, v42, v63
	v_sub_f32_e32 v29, v43, v29
	v_dual_sub_f32 v30, v44, v65 :: v_dual_sub_f32 v31, v45, v31
	v_dual_sub_f32 v32, v46, v67 :: v_dual_sub_f32 v33, v47, v33
	;; [unrolled: 1-line block ×6, first 2 shown]
	v_sub_f32_e32 v54, v60, v77
	v_sub_f32_e32 v55, v24, v55
	;; [unrolled: 1-line block ×3, first 2 shown]
	v_fma_f32 v41, v41, 2.0, -v26
	v_fma_f32 v42, v42, 2.0, -v27
	;; [unrolled: 1-line block ×18, first 2 shown]
	ds_store_2addr_b64 v196, v[41:42], v[26:27] offset1:4
	ds_store_2addr_b64 v197, v[43:44], v[29:30] offset1:4
	ds_store_2addr_b64 v191, v[45:46], v[31:32] offset1:4
	ds_store_2addr_b64 v188, v[47:48], v[33:34] offset1:4
	ds_store_2addr_b64 v184, v[49:50], v[35:36] offset1:4
	ds_store_2addr_b64 v181, v[51:52], v[37:38] offset1:4
	ds_store_2addr_b64 v178, v[57:58], v[39:40] offset1:4
	ds_store_2addr_b64 v175, v[59:60], v[53:54] offset1:4
	ds_store_2addr_b64 v172, v[24:25], v[55:56] offset1:4
	global_wb scope:SCOPE_SE
	s_wait_dscnt 0x0
	s_barrier_signal -1
	s_barrier_wait -1
	global_inv scope:SCOPE_SE
	global_load_b64 v[139:140], v62, s[10:11] offset:48
	v_and_or_b32 v24, 0xf0, v0, v61
	v_and_or_b32 v29, 0x3f0, v5, v61
	;; [unrolled: 1-line block ×5, first 2 shown]
	v_lshl_add_u32 v194, v24, 3, v223
	v_and_or_b32 v24, 0x1f0, v4, v61
	v_and_or_b32 v37, 0x7f0, v1, v61
	;; [unrolled: 1-line block ×4, first 2 shown]
	v_lshl_add_u32 v190, v29, 3, v223
	v_lshl_add_u32 v195, v24, 3, v223
	ds_load_2addr_b64 v[24:27], v14 offset0:128 offset1:240
	ds_load_2addr_b64 v[29:32], v13 offset0:96 offset1:208
	v_lshl_add_u32 v187, v33, 3, v223
	v_lshl_add_u32 v183, v34, 3, v223
	;; [unrolled: 1-line block ×3, first 2 shown]
	ds_load_2addr_b64 v[33:36], v19 offset0:64 offset1:176
	v_lshl_add_u32 v177, v37, 3, v223
	v_lshl_add_u32 v174, v38, 3, v223
	;; [unrolled: 1-line block ×3, first 2 shown]
	ds_load_2addr_b64 v[37:40], v18 offset0:32 offset1:144
	ds_load_2addr_b64 v[41:44], v166 offset1:112
	ds_load_2addr_b64 v[45:48], v15 offset0:96 offset1:208
	ds_load_2addr_b64 v[49:52], v16 offset0:64 offset1:176
	ds_load_2addr_b64 v[53:56], v17 offset1:112
	ds_load_2addr_b64 v[57:60], v28 offset0:32 offset1:144
	v_and_b32_e32 v9, 15, v165
	global_wb scope:SCOPE_SE
	s_wait_loadcnt_dscnt 0x0
	s_barrier_signal -1
	s_barrier_wait -1
	global_inv scope:SCOPE_SE
	v_lshlrev_b32_e32 v62, 3, v9
	v_and_or_b32 v0, 0xe0, v0, v9
	v_and_or_b32 v8, 0x5e0, v8, v9
	s_delay_alu instid0(VALU_DEP_2) | instskip(SKIP_2) | instid1(VALU_DEP_4)
	v_lshl_add_u32 v212, v0, 3, v223
	v_and_or_b32 v0, 0x1e0, v4, v9
	v_and_or_b32 v4, 0x3e0, v5, v9
	v_lshl_add_u32 v207, v8, 3, v223
	s_delay_alu instid0(VALU_DEP_3) | instskip(NEXT) | instid1(VALU_DEP_3)
	v_lshl_add_u32 v213, v0, 3, v223
	v_lshl_add_u32 v211, v4, 3, v223
	v_mul_f32_e32 v61, v27, v140
	v_mul_f32_e32 v63, v26, v140
	;; [unrolled: 1-line block ×18, first 2 shown]
	v_fma_f32 v26, v26, v139, -v61
	v_fmac_f32_e32 v63, v27, v139
	v_fma_f32 v29, v29, v139, -v64
	v_fmac_f32_e32 v65, v30, v139
	;; [unrolled: 2-line block ×8, first 2 shown]
	v_fma_f32 v55, v55, v139, -v78
	v_dual_fmac_f32 v79, v56, v139 :: v_dual_sub_f32 v26, v41, v26
	v_sub_f32_e32 v27, v42, v63
	v_sub_f32_e32 v29, v43, v29
	v_dual_sub_f32 v30, v44, v65 :: v_dual_sub_f32 v31, v45, v31
	v_dual_sub_f32 v32, v46, v67 :: v_dual_sub_f32 v33, v47, v33
	;; [unrolled: 1-line block ×6, first 2 shown]
	v_sub_f32_e32 v54, v60, v77
	v_sub_f32_e32 v55, v24, v55
	;; [unrolled: 1-line block ×3, first 2 shown]
	v_fma_f32 v41, v41, 2.0, -v26
	v_fma_f32 v42, v42, 2.0, -v27
	;; [unrolled: 1-line block ×18, first 2 shown]
	ds_store_2addr_b64 v194, v[41:42], v[26:27] offset1:8
	ds_store_2addr_b64 v195, v[43:44], v[29:30] offset1:8
	;; [unrolled: 1-line block ×9, first 2 shown]
	global_wb scope:SCOPE_SE
	s_wait_dscnt 0x0
	s_barrier_signal -1
	s_barrier_wait -1
	global_inv scope:SCOPE_SE
	global_load_b64 v[143:144], v62, s[10:11] offset:112
	v_and_or_b32 v26, 0x3e0, v6, v9
	v_and_or_b32 v27, 0x7e0, v7, v9
	;; [unrolled: 1-line block ×5, first 2 shown]
	ds_load_2addr_b64 v[0:3], v14 offset0:128 offset1:240
	ds_load_2addr_b64 v[4:7], v13 offset0:96 offset1:208
	;; [unrolled: 1-line block ×3, first 2 shown]
	v_lshl_add_u32 v206, v33, 3, v223
	v_lshl_add_u32 v205, v34, 3, v223
	ds_load_2addr_b64 v[33:36], v18 offset0:32 offset1:144
	ds_load_2addr_b64 v[37:40], v166 offset1:112
	ds_load_2addr_b64 v[41:44], v15 offset0:96 offset1:208
	ds_load_2addr_b64 v[45:48], v16 offset0:64 offset1:176
	ds_load_2addr_b64 v[49:52], v17 offset1:112
	ds_load_2addr_b64 v[53:56], v28 offset0:32 offset1:144
	v_lshl_add_u32 v203, v9, 3, v223
	v_lshl_add_u32 v210, v26, 3, v223
	v_lshl_add_u32 v209, v27, 3, v223
	v_and_b32_e32 v24, 31, v165
	v_and_b32_e32 v25, 31, v23
	global_wb scope:SCOPE_SE
	s_wait_loadcnt_dscnt 0x0
	s_barrier_signal -1
	s_barrier_wait -1
	global_inv scope:SCOPE_SE
	v_lshlrev_b32_e32 v57, 4, v24
	v_lshlrev_b32_e32 v58, 4, v25
	v_mul_f32_e32 v8, v3, v144
	v_mul_f32_e32 v9, v2, v144
	;; [unrolled: 1-line block ×18, first 2 shown]
	v_fma_f32 v2, v2, v143, -v8
	v_fmac_f32_e32 v9, v3, v143
	v_fma_f32 v4, v4, v143, -v26
	v_fmac_f32_e32 v27, v5, v143
	;; [unrolled: 2-line block ×9, first 2 shown]
	v_dual_sub_f32 v2, v37, v2 :: v_dual_sub_f32 v3, v38, v9
	v_dual_sub_f32 v4, v39, v4 :: v_dual_sub_f32 v5, v40, v27
	;; [unrolled: 1-line block ×9, first 2 shown]
	v_fma_f32 v37, v37, 2.0, -v2
	v_fma_f32 v38, v38, 2.0, -v3
	;; [unrolled: 1-line block ×18, first 2 shown]
	ds_store_2addr_b64 v212, v[37:38], v[2:3] offset1:16
	ds_store_2addr_b64 v213, v[39:40], v[4:5] offset1:16
	;; [unrolled: 1-line block ×9, first 2 shown]
	v_and_b32_e32 v29, 31, v21
	global_wb scope:SCOPE_SE
	s_wait_dscnt 0x0
	s_barrier_signal -1
	s_barrier_wait -1
	global_inv scope:SCOPE_SE
	v_lshlrev_b32_e32 v4, 4, v29
	s_clause 0x2
	global_load_b128 v[0:3], v57, s[10:11] offset:240
	global_load_b64 v[145:146], v58, s[10:11] offset:240
	global_load_b64 v[147:148], v58, s[10:11] offset:248
	v_and_b32_e32 v30, 31, v20
	v_add_co_u32 v26, s2, 0xffffffa0, v165
	s_clause 0x2
	global_load_b128 v[4:7], v4, s[10:11] offset:240
	global_load_b32 v208, v58, s[10:11] offset:252
	global_load_b64 v[149:150], v58, s[10:11] offset:244
	v_lshlrev_b32_e32 v8, 4, v30
	s_wait_alu 0xf1ff
	v_add_co_ci_u32_e64 v9, null, 0, -1, s2
	v_lshrrev_b32_e32 v31, 5, v20
	v_lshrrev_b32_e32 v32, 5, v12
	global_load_b32 v198, v8, s[10:11] offset:240
	v_lshrrev_b32_e32 v8, 5, v165
	v_lshrrev_b32_e32 v34, 5, v22
	;; [unrolled: 1-line block ×3, first 2 shown]
	s_wait_alu 0xfffd
	v_cndmask_b32_e64 v9, v9, 0, vcc_lo
	v_and_b32_e32 v36, 0xff, v20
	v_mul_u32_u24_e32 v27, 0x60, v8
	v_dual_cndmask_b32 v8, v26, v165 :: v_dual_and_b32 v37, 0xffff, v12
	v_and_b32_e32 v39, 0xffff, v22
	v_and_b32_e32 v40, 0xffff, v23
	v_lshrrev_b32_e32 v33, 5, v21
	v_and_b32_e32 v38, 0xffff, v21
	v_or_b32_e32 v41, v27, v24
	v_mul_u32_u24_e32 v31, 0x60, v31
	v_mul_u32_u24_e32 v32, 0x60, v32
	;; [unrolled: 1-line block ×4, first 2 shown]
	v_lshlrev_b64_e32 v[26:27], 4, v[8:9]
	v_mul_lo_u16 v9, 0xab, v36
	v_mul_u32_u24_e32 v36, 0xaaab, v37
	v_mul_u32_u24_e32 v39, 0xaaab, v39
	;; [unrolled: 1-line block ×5, first 2 shown]
	v_lshl_add_u32 v219, v41, 3, v223
	v_or_b32_e32 v41, v31, v30
	v_or_b32_e32 v32, v32, v24
	;; [unrolled: 1-line block ×4, first 2 shown]
	v_lshrrev_b16 v37, 14, v9
	v_lshrrev_b32_e32 v9, 22, v36
	v_lshrrev_b32_e32 v30, 22, v39
	;; [unrolled: 1-line block ×3, first 2 shown]
	v_add_co_u32 v66, vcc_lo, s10, v26
	v_or_b32_e32 v33, v33, v29
	v_lshrrev_b32_e32 v29, 22, v38
	s_wait_alu 0xfffd
	v_add_co_ci_u32_e32 v67, vcc_lo, s11, v27, vcc_lo
	v_lshl_add_u32 v217, v32, 3, v223
	v_lshl_add_u32 v215, v24, 3, v223
	;; [unrolled: 1-line block ×3, first 2 shown]
	v_mul_lo_u16 v24, 0x60, v37
	v_mul_lo_u16 v25, 0x60, v9
	;; [unrolled: 1-line block ×4, first 2 shown]
	v_lshl_add_u32 v216, v33, 3, v223
	v_mul_lo_u16 v26, 0x60, v29
	v_sub_nc_u16 v20, v20, v24
	v_sub_nc_u16 v33, v12, v25
	;; [unrolled: 1-line block ×5, first 2 shown]
	v_and_b32_e32 v32, 0xff, v20
	v_lshlrev_b16 v20, 4, v33
	v_lshlrev_b16 v38, 4, v35
	;; [unrolled: 1-line block ×3, first 2 shown]
	v_lshl_add_u32 v218, v41, 3, v223
	v_lshlrev_b16 v24, 4, v34
	v_and_b32_e32 v42, 0xffff, v20
	v_and_b32_e32 v72, 0xffff, v38
	;; [unrolled: 1-line block ×3, first 2 shown]
	ds_load_2addr_b64 v[38:41], v14 offset0:128 offset1:240
	ds_load_2addr_b64 v[20:23], v28 offset0:32 offset1:144
	v_and_b32_e32 v71, 0xffff, v24
	ds_load_2addr_b64 v[24:27], v19 offset0:64 offset1:176
	v_add_co_u32 v68, s2, s10, v42
	ds_load_2addr_b64 v[42:45], v18 offset0:32 offset1:144
	ds_load_2addr_b64 v[46:49], v166 offset1:112
	ds_load_2addr_b64 v[50:53], v15 offset0:96 offset1:208
	ds_load_2addr_b64 v[54:57], v16 offset0:64 offset1:176
	ds_load_2addr_b64 v[58:61], v13 offset0:96 offset1:208
	ds_load_2addr_b64 v[62:65], v17 offset1:112
	v_mad_u16 v9, 0x120, v9, v33
	v_mad_u16 v33, 0x120, v30, v35
	s_wait_alu 0xf1ff
	v_add_co_ci_u32_e64 v69, null, s11, 0, s2
	global_wb scope:SCOPE_SE
	s_wait_loadcnt_dscnt 0x0
	s_barrier_signal -1
	s_barrier_wait -1
	global_inv scope:SCOPE_SE
	v_lshlrev_b32_e32 v70, 4, v32
	v_cmp_lt_u16_e32 vcc_lo, 0x5f, v10
	v_and_b32_e32 v37, 0xffff, v37
	v_mad_u16 v29, 0x120, v29, v34
	v_mad_u16 v36, 0x120, v31, v36
	v_and_b32_e32 v9, 0xffff, v9
	s_delay_alu instid0(VALU_DEP_1)
	v_lshl_add_u32 v224, v9, 3, v223
	v_dual_mul_f32 v75, v20, v1 :: v_dual_mul_f32 v76, v25, v3
	v_mul_f32_e32 v80, v27, v148
	v_mul_f32_e32 v84, v43, v3
	;; [unrolled: 1-line block ×8, first 2 shown]
	v_fmac_f32_e32 v87, v41, v4
	v_fmac_f32_e32 v89, v45, v6
	;; [unrolled: 1-line block ×3, first 2 shown]
	v_fma_f32 v21, v24, v2, -v76
	v_fma_f32 v24, v26, v150, -v80
	;; [unrolled: 1-line block ×3, first 2 shown]
	v_dual_sub_f32 v84, v87, v89 :: v_dual_mul_f32 v85, v42, v3
	v_mul_f32_e32 v78, v23, v146
	v_mul_f32_e32 v90, v59, v1
	;; [unrolled: 1-line block ×3, first 2 shown]
	v_fmac_f32_e32 v83, v39, v0
	v_fmac_f32_e32 v85, v43, v2
	v_mul_f32_e32 v95, v60, v149
	v_mul_f32_e32 v97, v64, v208
	v_fmac_f32_e32 v81, v27, v150
	v_fma_f32 v27, v58, v0, -v90
	v_fma_f32 v42, v62, v2, -v92
	v_dual_sub_f32 v76, v83, v85 :: v_dual_mul_f32 v79, v22, v146
	v_fma_f32 v22, v22, v198, -v78
	v_add_f32_e32 v78, v51, v83
	v_mul_f32_e32 v82, v39, v1
	v_mul_f32_e32 v94, v61, v149
	;; [unrolled: 1-line block ×3, first 2 shown]
	v_dual_fmac_f32 v95, v61, v145 :: v_dual_add_f32 v90, v54, v27
	v_add_f32_e32 v92, v27, v42
	v_dual_sub_f32 v98, v27, v42 :: v_dual_add_f32 v27, v78, v85
	v_dual_fmac_f32 v97, v65, v147 :: v_dual_add_nc_u32 v78, 0x2c00, v166
	v_fmac_f32_e32 v79, v23, v198
	v_fma_f32 v23, v38, v0, -v82
	v_fma_f32 v38, v60, v145, -v94
	v_mul_f32_e32 v86, v41, v5
	v_sub_f32_e32 v152, v95, v97
	v_mul_f32_e32 v91, v58, v1
	v_fma_f32 v58, v64, v147, -v96
	v_mul_f32_e32 v88, v45, v7
	v_fma_f32 v20, v20, v0, -v74
	v_dual_fmac_f32 v77, v25, v2 :: v_dual_add_f32 v64, v79, v81
	s_delay_alu instid0(VALU_DEP_4)
	v_add_f32_e32 v151, v38, v58
	v_add_f32_e32 v99, v56, v38
	v_fma_f32 v25, v40, v4, -v86
	v_fma_f32 v40, v44, v6, -v88
	v_add_f32_e32 v41, v20, v21
	v_fma_f32 v56, -0.5, v151, v56
	v_dual_mul_f32 v93, v62, v3 :: v_dual_add_f32 v44, v75, v77
	v_add_f32_e32 v61, v22, v24
	v_add_f32_e32 v39, v46, v20
	;; [unrolled: 1-line block ×3, first 2 shown]
	s_delay_alu instid0(VALU_DEP_4)
	v_fmac_f32_e32 v93, v63, v2
	v_add_f32_e32 v63, v49, v79
	v_dual_fmac_f32 v49, -0.5, v64 :: v_dual_fmamk_f32 v64, v152, 0x3f5db3d7, v56
	v_fmac_f32_e32 v91, v59, v0
	v_sub_f32_e32 v59, v75, v77
	v_sub_f32_e32 v62, v79, v81
	v_add_f32_e32 v75, v23, v26
	v_add_f32_e32 v79, v83, v85
	v_sub_f32_e32 v60, v20, v21
	v_add_f32_e32 v45, v48, v22
	v_sub_f32_e32 v65, v22, v24
	v_add_f32_e32 v74, v50, v23
	v_dual_sub_f32 v80, v23, v26 :: v_dual_add_f32 v83, v25, v40
	v_dual_add_f32 v86, v53, v87 :: v_dual_add_f32 v87, v87, v89
	v_sub_f32_e32 v94, v91, v93
	v_add_f32_e32 v96, v55, v91
	v_add_f32_e32 v91, v91, v93
	;; [unrolled: 1-line block ×4, first 2 shown]
	v_fma_f32 v22, -0.5, v41, v46
	v_fma_f32 v23, -0.5, v44, v47
	;; [unrolled: 1-line block ×3, first 2 shown]
	v_sub_f32_e32 v154, v38, v58
	v_add_f32_e32 v20, v39, v21
	v_fma_f32 v38, -0.5, v75, v50
	v_fma_f32 v39, -0.5, v79, v51
	v_add_f32_e32 v82, v52, v25
	v_dual_sub_f32 v88, v25, v40 :: v_dual_add_f32 v21, v43, v77
	v_add_f32_e32 v24, v45, v24
	v_fma_f32 v52, -0.5, v83, v52
	v_fmac_f32_e32 v53, -0.5, v87
	v_fma_f32 v44, -0.5, v92, v54
	v_fma_f32 v45, -0.5, v91, v55
	v_dual_fmac_f32 v57, -0.5, v95 :: v_dual_fmamk_f32 v50, v59, 0x3f5db3d7, v22
	v_dual_fmamk_f32 v51, v60, 0xbf5db3d7, v23 :: v_dual_fmac_f32 v22, 0xbf5db3d7, v59
	v_fmac_f32_e32 v23, 0x3f5db3d7, v60
	v_dual_add_f32 v25, v63, v81 :: v_dual_fmamk_f32 v54, v62, 0x3f5db3d7, v48
	v_dual_fmamk_f32 v55, v65, 0xbf5db3d7, v49 :: v_dual_fmac_f32 v48, 0xbf5db3d7, v62
	v_dual_fmac_f32 v49, 0x3f5db3d7, v65 :: v_dual_add_f32 v26, v74, v26
	v_add_f32_e32 v46, v99, v58
	v_fmamk_f32 v58, v76, 0x3f5db3d7, v38
	v_dual_fmamk_f32 v59, v80, 0xbf5db3d7, v39 :: v_dual_add_f32 v40, v82, v40
	v_add_f32_e32 v41, v86, v89
	v_dual_add_f32 v42, v90, v42 :: v_dual_add_f32 v43, v96, v93
	v_dual_add_f32 v47, v153, v97 :: v_dual_fmac_f32 v38, 0xbf5db3d7, v76
	v_dual_fmac_f32 v39, 0x3f5db3d7, v80 :: v_dual_fmamk_f32 v60, v84, 0x3f5db3d7, v52
	v_dual_fmac_f32 v52, 0xbf5db3d7, v84 :: v_dual_fmamk_f32 v61, v88, 0xbf5db3d7, v53
	v_dual_fmac_f32 v53, 0x3f5db3d7, v88 :: v_dual_fmamk_f32 v62, v94, 0x3f5db3d7, v44
	v_dual_fmac_f32 v44, 0xbf5db3d7, v94 :: v_dual_fmamk_f32 v63, v98, 0xbf5db3d7, v45
	v_fmac_f32_e32 v45, 0x3f5db3d7, v98
	v_dual_fmac_f32 v56, 0xbf5db3d7, v152 :: v_dual_fmamk_f32 v65, v154, 0xbf5db3d7, v57
	v_fmac_f32_e32 v57, 0x3f5db3d7, v154
	ds_store_2addr_b64 v219, v[20:21], v[50:51] offset1:32
	ds_store_b64 v219, v[22:23] offset:512
	ds_store_2addr_b64 v218, v[24:25], v[54:55] offset1:32
	ds_store_b64 v218, v[48:49] offset:512
	;; [unrolled: 2-line block ×6, first 2 shown]
	v_add_co_u32 v20, s2, s10, v71
	s_wait_alu 0xf1ff
	v_add_co_ci_u32_e64 v21, null, s11, 0, s2
	v_add_co_u32 v22, s2, s10, v72
	global_wb scope:SCOPE_SE
	s_wait_dscnt 0x0
	s_barrier_signal -1
	s_barrier_wait -1
	global_inv scope:SCOPE_SE
	s_clause 0x3
	global_load_b128 v[64:67], v[66:67], off offset:752
	global_load_b128 v[60:63], v70, s[10:11] offset:752
	global_load_b128 v[52:55], v[68:69], off offset:752
	global_load_b128 v[40:43], v[20:21], off offset:752
	s_wait_alu 0xf1ff
	v_add_co_ci_u32_e64 v23, null, s11, 0, s2
	v_add_co_u32 v20, s2, s10, v73
	s_wait_alu 0xf1ff
	v_add_co_ci_u32_e64 v21, null, s11, 0, s2
	s_clause 0x1
	global_load_b128 v[24:27], v[22:23], off offset:752
	global_load_b128 v[20:23], v[20:21], off offset:752
	s_wait_alu 0xfffd
	v_cndmask_b32_e64 v38, 0, 0x120, vcc_lo
	v_add_nc_u32_e32 v76, 0x800, v166
	v_add_nc_u32_e32 v77, 0x1000, v166
	;; [unrolled: 1-line block ×3, first 2 shown]
	s_load_b64 s[2:3], s[0:1], 0x38
	v_add_nc_u32_e32 v8, v8, v38
	v_and_b32_e32 v38, 0xffff, v33
	v_cmp_gt_u16_e32 vcc_lo, 64, v10
	s_delay_alu instid0(VALU_DEP_3)
	v_lshl_add_u32 v226, v8, 3, v223
	v_mul_u32_u24_e32 v8, 0x120, v37
	v_and_b32_e32 v37, 0xffff, v29
	ds_load_2addr_b64 v[28:31], v28 offset0:32 offset1:144
	v_lshl_add_u32 v221, v38, 3, v223
	v_add_nc_u32_e32 v8, v8, v32
	ds_load_2addr_b64 v[32:35], v19 offset0:64 offset1:176
	v_and_b32_e32 v19, 0xffff, v36
	v_lshl_add_u32 v222, v37, 3, v223
	ds_load_2addr_b64 v[36:39], v14 offset0:128 offset1:240
	ds_load_2addr_b64 v[44:47], v18 offset0:32 offset1:144
	ds_load_2addr_b64 v[48:51], v166 offset1:112
	ds_load_2addr_b64 v[56:59], v15 offset0:96 offset1:208
	ds_load_2addr_b64 v[68:71], v16 offset0:64 offset1:176
	;; [unrolled: 1-line block ×3, first 2 shown]
	ds_load_2addr_b64 v[15:18], v17 offset1:112
	v_lshl_add_u32 v225, v8, 3, v223
	v_lshl_add_u32 v220, v19, 3, v223
	global_wb scope:SCOPE_SE
	s_wait_loadcnt_dscnt 0x0
	s_wait_kmcnt 0x0
	s_barrier_signal -1
	s_barrier_wait -1
	global_inv scope:SCOPE_SE
	v_dual_mul_f32 v9, v28, v65 :: v_dual_mul_f32 v84, v34, v63
	v_mul_f32_e32 v8, v29, v65
	v_mul_f32_e32 v85, v37, v53
	s_delay_alu instid0(VALU_DEP_3) | instskip(NEXT) | instid1(VALU_DEP_4)
	v_dual_mul_f32 v82, v30, v61 :: v_dual_fmac_f32 v9, v29, v64
	v_fmac_f32_e32 v84, v35, v62
	v_mul_f32_e32 v86, v36, v53
	v_fma_f32 v8, v28, v64, -v8
	v_mul_f32_e32 v80, v32, v67
	v_mul_f32_e32 v87, v45, v55
	;; [unrolled: 1-line block ×3, first 2 shown]
	v_dual_mul_f32 v98, v74, v21 :: v_dual_mul_f32 v151, v17, v23
	v_mul_f32_e32 v95, v16, v27
	v_mul_f32_e32 v94, v72, v25
	;; [unrolled: 1-line block ×3, first 2 shown]
	s_delay_alu instid0(VALU_DEP_4) | instskip(NEXT) | instid1(VALU_DEP_3)
	v_dual_fmac_f32 v98, v75, v20 :: v_dual_fmac_f32 v151, v18, v22
	v_dual_mul_f32 v97, v75, v21 :: v_dual_fmac_f32 v94, v73, v24
	s_delay_alu instid0(VALU_DEP_3) | instskip(NEXT) | instid1(VALU_DEP_3)
	v_fmac_f32_e32 v96, v16, v26
	v_dual_add_f32 v155, v71, v98 :: v_dual_sub_f32 v156, v98, v151
	v_add_f32_e32 v98, v98, v151
	v_mul_f32_e32 v99, v18, v23
	v_dual_mul_f32 v88, v44, v55 :: v_dual_mul_f32 v89, v39, v41
	s_delay_alu instid0(VALU_DEP_3)
	v_dual_mul_f32 v90, v38, v41 :: v_dual_fmac_f32 v71, -0.5, v98
	v_mul_f32_e32 v83, v35, v63
	v_fma_f32 v35, v15, v26, -v95
	v_fma_f32 v15, v74, v20, -v97
	v_sub_f32_e32 v97, v94, v96
	v_mul_f32_e32 v91, v47, v43
	v_fma_f32 v29, v34, v62, -v83
	v_fma_f32 v34, v72, v24, -v93
	v_add_f32_e32 v153, v70, v15
	v_mul_f32_e32 v92, v46, v43
	v_fmac_f32_e32 v80, v33, v66
	s_delay_alu instid0(VALU_DEP_4) | instskip(SKIP_3) | instid1(VALU_DEP_4)
	v_dual_fmac_f32 v82, v31, v60 :: v_dual_add_f32 v95, v34, v35
	v_dual_add_f32 v93, v68, v34 :: v_dual_fmac_f32 v86, v37, v52
	v_fmac_f32_e32 v88, v45, v54
	v_fmac_f32_e32 v90, v39, v40
	v_fma_f32 v68, -0.5, v95, v68
	v_mul_f32_e32 v81, v31, v61
	v_fma_f32 v31, v44, v54, -v87
	v_fmac_f32_e32 v92, v47, v42
	v_add_f32_e32 v18, v49, v9
	v_add_f32_e32 v72, v82, v84
	v_fma_f32 v28, v30, v60, -v81
	v_fma_f32 v30, v36, v52, -v85
	;; [unrolled: 1-line block ×3, first 2 shown]
	v_dual_add_f32 v47, v51, v82 :: v_dual_add_f32 v16, v48, v8
	s_delay_alu instid0(VALU_DEP_4) | instskip(NEXT) | instid1(VALU_DEP_3)
	v_dual_add_f32 v45, v28, v29 :: v_dual_add_f32 v44, v50, v28
	v_dual_add_f32 v154, v15, v36 :: v_dual_sub_f32 v73, v28, v29
	v_add_f32_e32 v28, v56, v30
	v_dual_add_f32 v74, v30, v31 :: v_dual_sub_f32 v37, v9, v80
	s_delay_alu instid0(VALU_DEP_3) | instskip(SKIP_3) | instid1(VALU_DEP_4)
	v_fma_f32 v70, -0.5, v154, v70
	v_mul_f32_e32 v19, v33, v67
	v_add_f32_e32 v154, v155, v151
	v_fma_f32 v33, v46, v42, -v91
	v_dual_sub_f32 v46, v82, v84 :: v_dual_fmamk_f32 v155, v156, 0x3f5db3d7, v70
	v_fmac_f32_e32 v70, 0xbf5db3d7, v156
	v_fma_f32 v19, v32, v66, -v19
	v_fma_f32 v32, v38, v40, -v89
	v_add_f32_e32 v38, v9, v80
	v_add_f32_e32 v82, v86, v88
	v_sub_f32_e32 v75, v86, v88
	v_add_f32_e32 v17, v8, v19
	v_sub_f32_e32 v39, v8, v19
	v_dual_add_f32 v81, v57, v86 :: v_dual_add_f32 v86, v32, v33
	v_sub_f32_e32 v87, v90, v92
	v_dual_add_f32 v89, v59, v90 :: v_dual_add_f32 v90, v90, v92
	v_dual_add_f32 v99, v69, v94 :: v_dual_add_f32 v94, v94, v96
	v_add_f32_e32 v9, v18, v80
	v_fma_f32 v17, -0.5, v17, v48
	v_fma_f32 v18, -0.5, v38, v49
	;; [unrolled: 1-line block ×3, first 2 shown]
	v_fmac_f32_e32 v51, -0.5, v72
	v_sub_f32_e32 v83, v30, v31
	v_add_f32_e32 v28, v28, v31
	v_fma_f32 v30, -0.5, v74, v56
	v_fma_f32 v31, -0.5, v82, v57
	v_add_f32_e32 v85, v58, v32
	v_dual_sub_f32 v91, v32, v33 :: v_dual_sub_f32 v152, v34, v35
	v_dual_sub_f32 v157, v15, v36 :: v_dual_add_f32 v8, v16, v19
	v_fma_f32 v58, -0.5, v86, v58
	v_fmac_f32_e32 v59, -0.5, v90
	v_fma_f32 v69, -0.5, v94, v69
	v_add_f32_e32 v153, v153, v36
	v_fmamk_f32 v36, v37, 0x3f5db3d7, v17
	v_fmac_f32_e32 v17, 0xbf5db3d7, v37
	v_fmamk_f32 v37, v39, 0xbf5db3d7, v18
	v_dual_fmac_f32 v18, 0x3f5db3d7, v39 :: v_dual_add_f32 v15, v44, v29
	v_add_f32_e32 v16, v47, v84
	v_fmamk_f32 v38, v46, 0x3f5db3d7, v50
	v_dual_fmamk_f32 v39, v73, 0xbf5db3d7, v51 :: v_dual_fmac_f32 v50, 0xbf5db3d7, v46
	v_fmac_f32_e32 v51, 0x3f5db3d7, v73
	v_dual_add_f32 v29, v81, v88 :: v_dual_fmamk_f32 v44, v75, 0x3f5db3d7, v30
	v_dual_fmamk_f32 v45, v83, 0xbf5db3d7, v31 :: v_dual_add_f32 v32, v85, v33
	v_add_f32_e32 v33, v89, v92
	v_dual_add_f32 v34, v93, v35 :: v_dual_add_f32 v35, v99, v96
	v_fmac_f32_e32 v30, 0xbf5db3d7, v75
	v_dual_fmac_f32 v31, 0x3f5db3d7, v83 :: v_dual_fmamk_f32 v46, v87, 0x3f5db3d7, v58
	v_dual_fmac_f32 v58, 0xbf5db3d7, v87 :: v_dual_fmamk_f32 v47, v91, 0xbf5db3d7, v59
	;; [unrolled: 1-line block ×4, first 2 shown]
	v_fmac_f32_e32 v69, 0x3f5db3d7, v152
	v_fmamk_f32 v156, v157, 0xbf5db3d7, v71
	v_fmac_f32_e32 v71, 0x3f5db3d7, v157
	ds_store_2addr_b64 v226, v[8:9], v[36:37] offset1:96
	ds_store_b64 v226, v[17:18] offset:1536
	ds_store_2addr_b64 v225, v[15:16], v[38:39] offset1:96
	ds_store_b64 v225, v[50:51] offset:1536
	;; [unrolled: 2-line block ×6, first 2 shown]
	global_wb scope:SCOPE_SE
	s_wait_dscnt 0x0
	s_barrier_signal -1
	s_barrier_wait -1
	global_inv scope:SCOPE_SE
	ds_load_2addr_b64 v[72:75], v166 offset1:112
	ds_load_2addr_b64 v[96:99], v76 offset0:32 offset1:144
	ds_load_2addr_b64 v[92:95], v77 offset0:64 offset1:176
	;; [unrolled: 1-line block ×6, first 2 shown]
	v_add_co_u32 v151, s0, s8, v11
	s_wait_alu 0xf1ff
	v_add_co_ci_u32_e64 v152, null, s9, 0, s0
                                        ; implicit-def: $vgpr157
	s_and_saveexec_b32 s0, vcc_lo
	s_cbranch_execz .LBB0_3
; %bb.2:
	ds_load_b64 v[68:69], v166 offset:1792
	ds_load_b64 v[153:154], v166 offset:4096
	ds_load_b64 v[155:156], v166 offset:6400
	ds_load_b64 v[70:71], v166 offset:8704
	ds_load_b64 v[159:160], v166 offset:11008
	ds_load_b64 v[157:158], v166 offset:13312
	ds_load_b64 v[161:162], v166 offset:15616
.LBB0_3:
	s_wait_alu 0xfffe
	s_or_b32 exec_lo, exec_lo, s0
	v_mad_co_u64_u32 v[8:9], null, v165, 48, s[10:11]
	v_lshl_add_u32 v223, v165, 3, v223
	s_clause 0x5
	global_load_b128 v[56:59], v[8:9], off offset:2288
	global_load_b128 v[44:47], v[8:9], off offset:2304
	global_load_b128 v[28:31], v[8:9], off offset:2320
	global_load_b128 v[48:51], v[8:9], off offset:7664
	global_load_b128 v[36:39], v[8:9], off offset:7680
	global_load_b128 v[32:35], v[8:9], off offset:7696
	v_subrev_nc_u32_e32 v8, 64, v165
	s_wait_loadcnt_dscnt 0x505
	s_delay_alu instid0(VALU_DEP_1) | instskip(NEXT) | instid1(VALU_DEP_1)
	v_dual_cndmask_b32 v8, v8, v12 :: v_dual_mul_f32 v227, v97, v57
	v_mul_i32_i24_e32 v9, 48, v8
	v_mul_hi_i32_i24_e32 v8, 48, v8
	s_wait_dscnt 0x4
	v_dual_mul_f32 v228, v96, v57 :: v_dual_mul_f32 v229, v93, v59
	s_wait_loadcnt_dscnt 0x403
	v_dual_mul_f32 v230, v92, v59 :: v_dual_mul_f32 v231, v89, v45
	v_add_co_u32 v16, s0, s10, v9
	s_wait_alu 0xf1ff
	v_add_co_ci_u32_e64 v17, s0, s11, v8, s0
	s_wait_dscnt 0x2
	v_dual_mul_f32 v232, v88, v45 :: v_dual_mul_f32 v233, v85, v47
	s_clause 0x2
	global_load_b128 v[12:15], v[16:17], off offset:2288
	global_load_b128 v[8:11], v[16:17], off offset:2304
	global_load_b128 v[16:19], v[16:17], off offset:2320
	s_wait_loadcnt_dscnt 0x601
	v_dual_mul_f32 v234, v84, v47 :: v_dual_mul_f32 v235, v81, v29
	s_wait_dscnt 0x0
	v_dual_mul_f32 v236, v80, v29 :: v_dual_mul_f32 v237, v77, v31
	s_wait_loadcnt 0x5
	v_dual_mul_f32 v238, v76, v31 :: v_dual_mul_f32 v239, v99, v49
	s_wait_loadcnt 0x4
	v_dual_mul_f32 v242, v94, v51 :: v_dual_mul_f32 v243, v91, v37
	v_dual_mul_f32 v244, v90, v37 :: v_dual_mul_f32 v245, v87, v39
	s_wait_loadcnt 0x3
	v_dual_mul_f32 v246, v86, v39 :: v_dual_mul_f32 v247, v83, v33
	v_dual_mul_f32 v248, v82, v33 :: v_dual_mul_f32 v249, v79, v35
	;; [unrolled: 1-line block ×3, first 2 shown]
	v_fma_f32 v96, v96, v56, -v227
	v_fma_f32 v92, v92, v58, -v229
	;; [unrolled: 1-line block ×5, first 2 shown]
	v_fmac_f32_e32 v230, v93, v58
	v_fma_f32 v76, v76, v30, -v237
	v_mul_f32_e32 v250, v78, v35
	v_fma_f32 v86, v86, v38, -v245
	v_fmac_f32_e32 v242, v95, v50
	v_fma_f32 v82, v82, v32, -v247
	v_fmac_f32_e32 v248, v83, v32
	v_fmac_f32_e32 v238, v77, v30
	;; [unrolled: 1-line block ×3, first 2 shown]
	v_fma_f32 v77, v98, v48, -v239
	v_fma_f32 v78, v78, v34, -v249
	v_fmac_f32_e32 v232, v89, v44
	v_fmac_f32_e32 v240, v99, v48
	v_fma_f32 v81, v94, v50, -v241
	v_dual_fmac_f32 v250, v79, v34 :: v_dual_add_f32 v79, v96, v76
	v_dual_add_f32 v89, v92, v80 :: v_dual_fmac_f32 v234, v85, v46
	v_fma_f32 v85, v90, v36, -v243
	v_sub_f32_e32 v80, v92, v80
	v_add_f32_e32 v92, v88, v84
	v_fmac_f32_e32 v246, v87, v38
	v_sub_f32_e32 v76, v96, v76
	v_dual_sub_f32 v84, v84, v88 :: v_dual_add_f32 v239, v89, v79
	v_sub_f32_e32 v241, v89, v79
	s_wait_loadcnt 0x2
	v_mul_f32_e32 v229, v156, v15
	v_mul_f32_e32 v227, v154, v13
	s_wait_loadcnt 0x0
	v_dual_mul_f32 v237, v162, v19 :: v_dual_add_f32 v94, v77, v78
	v_sub_f32_e32 v79, v79, v92
	v_dual_sub_f32 v77, v77, v78 :: v_dual_fmac_f32 v244, v91, v36
	v_add_f32_e32 v95, v240, v250
	v_sub_f32_e32 v91, v230, v236
	v_dual_fmac_f32 v228, v97, v56 :: v_dual_add_f32 v93, v232, v234
	v_add_f32_e32 v96, v81, v82
	v_sub_f32_e32 v81, v81, v82
	v_dual_mul_f32 v235, v158, v17 :: v_dual_add_f32 v98, v85, v86
	v_add_f32_e32 v243, v84, v80
	v_sub_f32_e32 v85, v86, v85
	v_add_f32_e32 v97, v242, v248
	v_add_f32_e32 v83, v228, v238
	v_dual_sub_f32 v87, v228, v238 :: v_dual_add_f32 v90, v230, v236
	v_dual_add_f32 v99, v244, v246 :: v_dual_sub_f32 v88, v234, v232
	v_mul_f32_e32 v233, v160, v11
	v_sub_f32_e32 v78, v240, v250
	v_dual_sub_f32 v82, v242, v248 :: v_dual_sub_f32 v89, v92, v89
	v_sub_f32_e32 v86, v246, v244
	v_dual_mul_f32 v228, v153, v13 :: v_dual_sub_f32 v245, v84, v80
	v_mul_f32_e32 v231, v71, v9
	v_dual_mul_f32 v234, v159, v11 :: v_dual_add_f32 v251, v85, v81
	v_mul_f32_e32 v236, v157, v17
	v_mul_f32_e32 v238, v161, v19
	v_dual_add_f32 v240, v90, v83 :: v_dual_sub_f32 v253, v85, v81
	v_dual_sub_f32 v242, v90, v83 :: v_dual_sub_f32 v85, v77, v85
	v_sub_f32_e32 v83, v83, v93
	v_dual_mul_f32 v230, v155, v15 :: v_dual_add_f32 v247, v96, v94
	v_dual_mul_f32 v232, v70, v9 :: v_dual_sub_f32 v249, v96, v94
	v_sub_f32_e32 v246, v88, v91
	v_add_f32_e32 v248, v97, v95
	v_sub_f32_e32 v96, v98, v96
	v_dual_add_f32 v244, v88, v91 :: v_dual_sub_f32 v81, v81, v77
	v_sub_f32_e32 v90, v93, v90
	v_dual_sub_f32 v84, v76, v84 :: v_dual_mul_f32 v79, 0x3f4a47b2, v79
	v_dual_sub_f32 v88, v87, v88 :: v_dual_mul_f32 v83, 0x3f4a47b2, v83
	v_dual_sub_f32 v80, v80, v76 :: v_dual_sub_f32 v91, v91, v87
	v_fma_f32 v153, v153, v12, -v227
	v_fmac_f32_e32 v230, v156, v14
	v_fma_f32 v70, v70, v8, -v231
	v_fma_f32 v156, v161, v18, -v237
	v_dual_fmac_f32 v234, v160, v10 :: v_dual_add_f32 v93, v93, v240
	v_dual_add_f32 v77, v251, v77 :: v_dual_sub_f32 v254, v86, v82
	v_mul_f32_e32 v227, 0x3d64c772, v96
	v_fmac_f32_e32 v228, v154, v12
	v_fma_f32 v154, v155, v14, -v229
	v_fma_f32 v155, v157, v16, -v235
	v_dual_mul_f32 v157, 0x3d64c772, v89 :: v_dual_sub_f32 v250, v97, v95
	v_mul_f32_e32 v161, 0x3f5ff5aa, v80
	v_sub_f32_e32 v95, v95, v99
	v_dual_sub_f32 v97, v99, v97 :: v_dual_add_f32 v252, v86, v82
	v_dual_sub_f32 v82, v82, v78 :: v_dual_mul_f32 v231, 0xbf08b237, v253
	v_fmac_f32_e32 v232, v71, v8
	v_fma_f32 v71, v159, v10, -v233
	v_fmac_f32_e32 v236, v158, v16
	v_dual_fmac_f32 v238, v162, v18 :: v_dual_mul_f32 v159, 0xbf08b237, v245
	v_dual_sub_f32 v94, v94, v98 :: v_dual_add_f32 v99, v99, v248
	v_mul_f32_e32 v160, 0xbf08b237, v246
	v_dual_add_f32 v76, v243, v76 :: v_dual_add_f32 v87, v244, v87
	v_dual_mul_f32 v158, 0x3d64c772, v90 :: v_dual_fmamk_f32 v89, v89, 0x3d64c772, v79
	v_mul_f32_e32 v233, 0xbf08b237, v254
	v_mul_f32_e32 v235, 0x3f5ff5aa, v81
	v_dual_sub_f32 v243, v71, v70 :: v_dual_add_f32 v92, v92, v239
	v_add_f32_e32 v239, v153, v156
	v_dual_sub_f32 v153, v153, v156 :: v_dual_add_f32 v240, v228, v238
	v_sub_f32_e32 v156, v228, v238
	v_add_f32_e32 v238, v230, v236
	v_add_f32_e32 v228, v154, v155
	v_sub_f32_e32 v154, v154, v155
	v_sub_f32_e32 v155, v230, v236
	v_dual_add_f32 v230, v70, v71 :: v_dual_add_f32 v71, v73, v93
	v_fma_f32 v157, 0x3f3bfb3b, v241, -v157
	v_fma_f32 v79, 0xbf3bfb3b, v241, -v79
	v_add_f32_e32 v73, v75, v99
	v_dual_add_f32 v98, v98, v247 :: v_dual_fmamk_f32 v241, v88, 0x3eae86e6, v160
	v_dual_sub_f32 v86, v78, v86 :: v_dual_mul_f32 v229, 0x3d64c772, v97
	v_mul_f32_e32 v237, 0x3f5ff5aa, v82
	s_delay_alu instid0(VALU_DEP_3)
	v_dual_add_f32 v236, v232, v234 :: v_dual_fmac_f32 v241, 0x3ee1c552, v87
	v_mul_f32_e32 v162, 0x3f5ff5aa, v91
	v_fma_f32 v91, 0x3f5ff5aa, v91, -v160
	v_dual_add_f32 v70, v72, v92 :: v_dual_mul_f32 v95, 0x3f4a47b2, v95
	v_add_f32_e32 v78, v252, v78
	v_sub_f32_e32 v232, v234, v232
	v_fma_f32 v160, 0xbeae86e6, v84, -v161
	v_fmamk_f32 v161, v85, 0x3eae86e6, v231
	v_fmamk_f32 v93, v93, 0xbf955555, v71
	v_fmac_f32_e32 v91, 0x3ee1c552, v87
	v_fmamk_f32 v92, v92, 0xbf955555, v70
	v_fmamk_f32 v234, v84, 0x3eae86e6, v159
	v_fma_f32 v159, 0x3f5ff5aa, v80, -v159
	v_fma_f32 v80, 0x3f3bfb3b, v249, -v227
	;; [unrolled: 1-line block ×6, first 2 shown]
	v_sub_f32_e32 v235, v236, v238
	v_dual_mul_f32 v94, 0x3f4a47b2, v94 :: v_dual_add_f32 v81, v228, v239
	v_fma_f32 v158, 0x3f3bfb3b, v242, -v158
	v_dual_add_f32 v72, v74, v98 :: v_dual_fmac_f32 v159, 0x3ee1c552, v76
	v_fmamk_f32 v75, v97, 0x3d64c772, v95
	v_dual_sub_f32 v85, v228, v239 :: v_dual_add_f32 v82, v238, v240
	v_sub_f32_e32 v97, v240, v236
	v_fma_f32 v88, 0xbeae86e6, v88, -v162
	v_fmamk_f32 v162, v86, 0x3eae86e6, v233
	v_fma_f32 v233, 0xbeae86e6, v86, -v237
	v_dual_sub_f32 v86, v238, v240 :: v_dual_fmac_f32 v161, 0x3ee1c552, v77
	v_dual_add_f32 v238, v232, v155 :: v_dual_fmac_f32 v231, 0x3ee1c552, v77
	s_delay_alu instid0(VALU_DEP_3)
	v_dual_sub_f32 v240, v232, v155 :: v_dual_fmac_f32 v233, 0x3ee1c552, v78
	v_sub_f32_e32 v155, v155, v156
	v_dual_add_f32 v237, v243, v154 :: v_dual_fmamk_f32 v90, v90, 0x3d64c772, v83
	v_dual_sub_f32 v228, v230, v228 :: v_dual_fmac_f32 v229, 0x3ee1c552, v78
	v_fmamk_f32 v74, v96, 0x3d64c772, v94
	v_dual_sub_f32 v96, v239, v230 :: v_dual_fmac_f32 v227, 0x3ee1c552, v77
	v_fma_f32 v83, 0xbf3bfb3b, v242, -v83
	v_dual_sub_f32 v239, v243, v154 :: v_dual_sub_f32 v242, v153, v243
	s_delay_alu instid0(VALU_DEP_3)
	v_mul_f32_e32 v77, 0x3f4a47b2, v96
	v_sub_f32_e32 v232, v156, v232
	v_add_f32_e32 v230, v230, v81
	v_dual_add_f32 v237, v237, v153 :: v_dual_add_f32 v238, v238, v156
	v_dual_mul_f32 v81, 0x3d64c772, v228 :: v_dual_add_f32 v156, v90, v93
	v_add_f32_e32 v90, v158, v93
	v_fma_f32 v95, 0xbf3bfb3b, v250, -v95
	v_sub_f32_e32 v154, v154, v153
	v_add_f32_e32 v93, v83, v93
	v_add_f32_e32 v153, v89, v92
	v_fmac_f32_e32 v234, 0x3ee1c552, v76
	v_fma_f32 v245, 0x3f3bfb3b, v85, -v81
	v_fma_f32 v247, 0xbf3bfb3b, v85, -v77
	v_dual_add_f32 v85, v159, v90 :: v_dual_fmac_f32 v160, 0x3ee1c552, v76
	v_fmamk_f32 v76, v98, 0xbf955555, v72
	v_fmac_f32_e32 v88, 0x3ee1c552, v87
	v_fmamk_f32 v87, v99, 0xbf955555, v73
	v_fma_f32 v94, 0xbf3bfb3b, v249, -v94
	v_dual_add_f32 v236, v236, v82 :: v_dual_add_f32 v89, v157, v92
	v_mul_f32_e32 v99, 0x3f5ff5aa, v155
	s_delay_alu instid0(VALU_DEP_4) | instskip(NEXT) | instid1(VALU_DEP_3)
	v_add_f32_e32 v244, v95, v87
	v_dual_add_f32 v158, v75, v87 :: v_dual_add_f32 v75, v69, v236
	v_dual_fmac_f32 v162, 0x3ee1c552, v78 :: v_dual_add_f32 v157, v74, v76
	v_add_f32_e32 v243, v94, v76
	s_delay_alu instid0(VALU_DEP_4) | instskip(SKIP_4) | instid1(VALU_DEP_4)
	v_sub_f32_e32 v95, v244, v231
	v_dual_sub_f32 v69, v156, v234 :: v_dual_mul_f32 v78, 0x3f4a47b2, v97
	v_dual_sub_f32 v83, v93, v160 :: v_dual_mul_f32 v82, 0x3d64c772, v235
	v_dual_mul_f32 v97, 0xbf08b237, v240 :: v_dual_add_f32 v240, v84, v87
	v_dual_mul_f32 v96, 0xbf08b237, v239 :: v_dual_add_f32 v239, v80, v76
	v_fmamk_f32 v235, v235, 0x3d64c772, v78
	s_delay_alu instid0(VALU_DEP_4)
	v_fma_f32 v246, 0x3f3bfb3b, v86, -v82
	v_fma_f32 v248, 0xbf3bfb3b, v86, -v78
	;; [unrolled: 1-line block ×3, first 2 shown]
	v_sub_f32_e32 v84, v89, v91
	v_add_f32_e32 v86, v91, v89
	v_add_f32_e32 v89, v160, v93
	;; [unrolled: 1-line block ×3, first 2 shown]
	v_dual_sub_f32 v155, v157, v162 :: v_dual_add_f32 v92, v79, v92
	v_dual_sub_f32 v93, v158, v161 :: v_dual_add_f32 v156, v161, v158
	v_fmamk_f32 v158, v236, 0xbf955555, v75
	v_fmamk_f32 v228, v228, 0x3d64c772, v77
	;; [unrolled: 1-line block ×3, first 2 shown]
	v_dual_add_f32 v97, v227, v240 :: v_dual_mul_f32 v98, 0x3f5ff5aa, v154
	v_sub_f32_e32 v87, v90, v159
	v_fma_f32 v80, 0x3f5ff5aa, v154, -v96
	v_fma_f32 v79, 0xbeae86e6, v232, -v99
	v_add_f32_e32 v82, v88, v92
	v_fma_f32 v81, 0xbeae86e6, v242, -v98
	v_add_f32_e32 v74, v68, v230
	v_dual_add_f32 v68, v241, v153 :: v_dual_fmac_f32 v77, 0x3ee1c552, v238
	v_fmac_f32_e32 v80, 0x3ee1c552, v237
	v_sub_f32_e32 v90, v153, v241
	v_dual_sub_f32 v153, v243, v233 :: v_dual_fmamk_f32 v76, v242, 0x3eae86e6, v96
	v_sub_f32_e32 v99, v240, v227
	v_dual_fmac_f32 v81, 0x3ee1c552, v237 :: v_dual_sub_f32 v88, v92, v88
	v_add_f32_e32 v92, v162, v157
	v_fmamk_f32 v157, v230, 0xbf955555, v74
	v_fmac_f32_e32 v76, 0x3ee1c552, v237
	v_fmac_f32_e32 v78, 0x3ee1c552, v238
	;; [unrolled: 1-line block ×3, first 2 shown]
	ds_store_b64 v223, v[68:69] offset:2304
	ds_store_b64 v223, v[82:83] offset:4608
	;; [unrolled: 1-line block ×6, first 2 shown]
	ds_store_2addr_b64 v166, v[70:71], v[72:73] offset1:112
	ds_store_b64 v223, v[92:93] offset:3200
	v_add_f32_e32 v82, v245, v157
	v_add_f32_e32 v86, v246, v158
	v_dual_add_f32 v84, v247, v157 :: v_dual_add_f32 v87, v248, v158
	v_add_f32_e32 v85, v235, v158
	v_dual_add_f32 v83, v228, v157 :: v_dual_add_f32 v94, v233, v243
	v_add_f32_e32 v68, v78, v82
	v_sub_f32_e32 v69, v86, v80
	s_delay_alu instid0(VALU_DEP_4)
	v_add_f32_e32 v73, v76, v85
	v_sub_f32_e32 v70, v84, v79
	v_dual_add_f32 v71, v81, v87 :: v_dual_sub_f32 v72, v83, v77
	v_sub_f32_e32 v96, v239, v229
	v_add_f32_e32 v98, v229, v239
	v_add_f32_e32 v154, v231, v244
	ds_store_b64 v223, v[94:95] offset:5504
	ds_store_b64 v223, v[96:97] offset:7808
	;; [unrolled: 1-line block ×5, first 2 shown]
	s_and_saveexec_b32 s0, vcc_lo
	s_cbranch_execz .LBB0_5
; %bb.4:
	v_add_f32_e32 v80, v80, v86
	v_sub_f32_e32 v86, v87, v81
	v_sub_f32_e32 v88, v85, v76
	v_add_f32_e32 v87, v77, v83
	v_add_f32_e32 v85, v79, v84
	v_sub_f32_e32 v79, v82, v78
	ds_store_b64 v166, v[74:75] offset:1792
	ds_store_b64 v223, v[87:88] offset:4096
	;; [unrolled: 1-line block ×7, first 2 shown]
.LBB0_5:
	s_wait_alu 0xfffe
	s_or_b32 exec_lo, exec_lo, s0
	global_wb scope:SCOPE_SE
	s_wait_dscnt 0x0
	s_barrier_signal -1
	s_barrier_wait -1
	global_inv scope:SCOPE_SE
	global_load_b64 v[78:79], v[151:152], off offset:16128
	v_lshlrev_b32_e32 v99, 3, v165
	s_add_nc_u64 s[0:1], s[8:9], 0x3f00
	s_clause 0x2
	global_load_b64 v[80:81], v99, s[0:1] offset:896
	global_load_b64 v[83:84], v99, s[0:1] offset:1792
	;; [unrolled: 1-line block ×3, first 2 shown]
	ds_load_2addr_b64 v[74:77], v166 offset1:112
	s_wait_loadcnt_dscnt 0x300
	v_mul_f32_e32 v82, v75, v79
	v_mul_f32_e32 v88, v74, v79
	s_wait_loadcnt 0x2
	v_mul_f32_e32 v90, v76, v81
	s_delay_alu instid0(VALU_DEP_3) | instskip(SKIP_4) | instid1(VALU_DEP_4)
	v_fma_f32 v87, v74, v78, -v82
	v_mul_f32_e32 v74, v77, v81
	v_fmac_f32_e32 v88, v75, v78
	v_add_nc_u32_e32 v78, 0x2000, v166
	v_fmac_f32_e32 v90, v77, v80
	v_fma_f32 v89, v76, v80, -v74
	s_clause 0x2
	global_load_b64 v[79:80], v99, s[0:1] offset:8960
	global_load_b64 v[81:82], v99, s[0:1] offset:9856
	;; [unrolled: 1-line block ×3, first 2 shown]
	ds_load_2addr_b64 v[74:77], v78 offset0:96 offset1:208
	s_wait_loadcnt_dscnt 0x200
	v_mul_f32_e32 v93, v75, v80
	v_mul_f32_e32 v94, v74, v80
	s_wait_loadcnt 0x1
	v_mul_f32_e32 v96, v76, v82
	s_delay_alu instid0(VALU_DEP_3) | instskip(SKIP_2) | instid1(VALU_DEP_4)
	v_fma_f32 v93, v74, v79, -v93
	v_mul_f32_e32 v74, v77, v82
	v_fmac_f32_e32 v94, v75, v79
	v_fmac_f32_e32 v96, v77, v81
	s_delay_alu instid0(VALU_DEP_3)
	v_fma_f32 v95, v76, v81, -v74
	v_add_nc_u32_e32 v74, 0x400, v166
	ds_load_2addr_b64 v[79:82], v74 offset0:96 offset1:208
	s_wait_dscnt 0x0
	v_dual_mul_f32 v75, v80, v84 :: v_dual_mul_f32 v152, v81, v86
	v_mul_f32_e32 v98, v79, v84
	s_delay_alu instid0(VALU_DEP_2) | instskip(SKIP_1) | instid1(VALU_DEP_4)
	v_fma_f32 v97, v79, v83, -v75
	v_mul_f32_e32 v75, v82, v86
	v_fmac_f32_e32 v152, v82, v85
	s_delay_alu instid0(VALU_DEP_4) | instskip(SKIP_1) | instid1(VALU_DEP_4)
	v_fmac_f32_e32 v98, v80, v83
	v_add_nc_u32_e32 v80, 0x2800, v166
	v_fma_f32 v151, v81, v85, -v75
	s_clause 0x3
	global_load_b64 v[75:76], v99, s[0:1] offset:10752
	global_load_b64 v[85:86], v99, s[0:1] offset:11648
	;; [unrolled: 1-line block ×4, first 2 shown]
	ds_load_2addr_b64 v[81:84], v80 offset0:64 offset1:176
	s_wait_loadcnt_dscnt 0x300
	v_mul_f32_e32 v77, v82, v76
	v_mul_f32_e32 v158, v81, v76
	s_wait_loadcnt 0x2
	v_mul_f32_e32 v160, v83, v86
	s_delay_alu instid0(VALU_DEP_3) | instskip(NEXT) | instid1(VALU_DEP_3)
	v_fma_f32 v157, v81, v75, -v77
	v_dual_fmac_f32 v158, v82, v75 :: v_dual_mul_f32 v75, v84, v86
	s_delay_alu instid0(VALU_DEP_3) | instskip(NEXT) | instid1(VALU_DEP_2)
	v_fmac_f32_e32 v160, v84, v85
	v_fma_f32 v159, v83, v85, -v75
	s_clause 0x3
	global_load_b64 v[76:77], v99, s[0:1] offset:3584
	global_load_b64 v[85:86], v99, s[0:1] offset:4480
	;; [unrolled: 1-line block ×4, first 2 shown]
	v_add_nc_u32_e32 v75, 0xc00, v166
	ds_load_2addr_b64 v[81:84], v75 offset0:64 offset1:176
	s_wait_loadcnt_dscnt 0x300
	v_mul_f32_e32 v79, v82, v77
	v_mul_f32_e32 v230, v81, v77
	s_wait_loadcnt 0x2
	v_mul_f32_e32 v232, v83, v86
	s_delay_alu instid0(VALU_DEP_3) | instskip(NEXT) | instid1(VALU_DEP_3)
	v_fma_f32 v229, v81, v76, -v79
	v_fmac_f32_e32 v230, v82, v76
	v_mul_f32_e32 v76, v84, v86
	s_delay_alu instid0(VALU_DEP_4) | instskip(NEXT) | instid1(VALU_DEP_2)
	v_dual_fmac_f32 v232, v84, v85 :: v_dual_add_nc_u32 v79, 0x1800, v166
	v_fma_f32 v231, v83, v85, -v76
	v_add_nc_u32_e32 v76, 0x3000, v166
	ds_load_2addr_b64 v[81:84], v76 offset0:32 offset1:144
	s_wait_dscnt 0x0
	v_mul_f32_e32 v77, v82, v154
	v_mul_f32_e32 v234, v81, v154
	;; [unrolled: 1-line block ×3, first 2 shown]
	s_delay_alu instid0(VALU_DEP_3) | instskip(SKIP_1) | instid1(VALU_DEP_4)
	v_fma_f32 v233, v81, v153, -v77
	v_mul_f32_e32 v77, v84, v156
	v_dual_fmac_f32 v234, v82, v153 :: v_dual_add_nc_u32 v81, 0x1400, v166
	s_delay_alu instid0(VALU_DEP_4) | instskip(NEXT) | instid1(VALU_DEP_3)
	v_fmac_f32_e32 v154, v84, v155
	v_fma_f32 v153, v83, v155, -v77
	ds_load_2addr_b64 v[82:85], v81 offset0:32 offset1:144
	s_wait_loadcnt_dscnt 0x100
	v_mul_f32_e32 v77, v83, v162
	v_mul_f32_e32 v156, v82, v162
	s_wait_loadcnt 0x0
	v_mul_f32_e32 v162, v84, v228
	s_delay_alu instid0(VALU_DEP_3) | instskip(NEXT) | instid1(VALU_DEP_3)
	v_fma_f32 v155, v82, v161, -v77
	v_dual_mul_f32 v77, v85, v228 :: v_dual_fmac_f32 v156, v83, v161
	s_delay_alu instid0(VALU_DEP_3) | instskip(NEXT) | instid1(VALU_DEP_2)
	v_fmac_f32_e32 v162, v85, v227
	v_fma_f32 v161, v84, v227, -v77
	global_load_b64 v[227:228], v99, s[0:1] offset:7168
	ds_load_2addr_b64 v[82:85], v79 offset0:128 offset1:240
	s_wait_dscnt 0x0
	v_mul_f32_e32 v77, v85, v92
	v_mul_f32_e32 v236, v84, v92
	s_delay_alu instid0(VALU_DEP_2) | instskip(SKIP_1) | instid1(VALU_DEP_2)
	v_fma_f32 v235, v84, v91, -v77
	s_wait_loadcnt 0x0
	v_dual_fmac_f32 v236, v85, v91 :: v_dual_mul_f32 v77, v83, v228
	v_mul_f32_e32 v92, v82, v228
	s_delay_alu instid0(VALU_DEP_2) | instskip(NEXT) | instid1(VALU_DEP_2)
	v_fma_f32 v91, v82, v227, -v77
	v_fmac_f32_e32 v92, v83, v227
	s_clause 0x1
	global_load_b64 v[227:228], v99, s[0:1] offset:14336
	global_load_b64 v[237:238], v99, s[0:1] offset:15232
	v_add_nc_u32_e32 v77, 0x3800, v166
	ds_load_2addr_b64 v[82:85], v77 offset1:112
	s_wait_loadcnt_dscnt 0x100
	v_mul_f32_e32 v86, v83, v228
	v_mul_f32_e32 v240, v82, v228
	s_delay_alu instid0(VALU_DEP_2) | instskip(NEXT) | instid1(VALU_DEP_2)
	v_fma_f32 v239, v82, v227, -v86
	v_fmac_f32_e32 v240, v83, v227
	s_wait_loadcnt 0x0
	v_mul_f32_e32 v82, v85, v238
	v_mul_f32_e32 v83, v84, v238
	s_delay_alu instid0(VALU_DEP_2) | instskip(NEXT) | instid1(VALU_DEP_2)
	v_fma_f32 v82, v84, v237, -v82
	v_fmac_f32_e32 v83, v85, v237
	ds_store_2addr_b64 v166, v[87:88], v[89:90] offset1:112
	ds_store_2addr_b64 v78, v[93:94], v[95:96] offset0:96 offset1:208
	ds_store_2addr_b64 v74, v[97:98], v[151:152] offset0:96 offset1:208
	;; [unrolled: 1-line block ×7, first 2 shown]
	ds_store_2addr_b64 v77, v[239:240], v[82:83] offset1:112
	global_wb scope:SCOPE_SE
	s_wait_dscnt 0x0
	s_barrier_signal -1
	s_barrier_wait -1
	global_inv scope:SCOPE_SE
	ds_load_2addr_b64 v[82:85], v166 offset1:112
	ds_load_2addr_b64 v[86:89], v79 offset0:128 offset1:240
	ds_load_2addr_b64 v[92:95], v78 offset0:96 offset1:208
	;; [unrolled: 1-line block ×7, first 2 shown]
	ds_load_2addr_b64 v[231:234], v77 offset1:112
	global_wb scope:SCOPE_SE
	s_wait_dscnt 0x0
	s_barrier_signal -1
	s_barrier_wait -1
	global_inv scope:SCOPE_SE
	v_dual_sub_f32 v90, v82, v88 :: v_dual_sub_f32 v91, v83, v89
	s_delay_alu instid0(VALU_DEP_1) | instskip(NEXT) | instid1(VALU_DEP_2)
	v_fma_f32 v88, v82, 2.0, -v90
	v_fma_f32 v89, v83, 2.0, -v91
	ds_store_b128 v167, v[88:91]
	v_dual_sub_f32 v90, v84, v92 :: v_dual_sub_f32 v91, v85, v93
	s_delay_alu instid0(VALU_DEP_1) | instskip(NEXT) | instid1(VALU_DEP_2)
	v_fma_f32 v88, v84, 2.0, -v90
	v_fma_f32 v89, v85, 2.0, -v91
	v_dual_sub_f32 v84, v96, v94 :: v_dual_sub_f32 v85, v97, v95
	ds_store_b128 v170, v[88:91]
	v_fma_f32 v82, v96, 2.0, -v84
	v_fma_f32 v83, v97, 2.0, -v85
	ds_store_b128 v169, v[82:85]
	v_dual_sub_f32 v84, v98, v151 :: v_dual_sub_f32 v85, v99, v152
	s_delay_alu instid0(VALU_DEP_1) | instskip(NEXT) | instid1(VALU_DEP_2)
	v_fma_f32 v82, v98, 2.0, -v84
	v_fma_f32 v83, v99, 2.0, -v85
	ds_store_b128 v168, v[82:85]
	v_dual_sub_f32 v84, v155, v153 :: v_dual_sub_f32 v85, v156, v154
	s_delay_alu instid0(VALU_DEP_1) | instskip(NEXT) | instid1(VALU_DEP_2)
	;; [unrolled: 5-line block ×6, first 2 shown]
	v_fma_f32 v82, v86, 2.0, -v84
	v_fma_f32 v83, v87, 2.0, -v85
	ds_store_b128 v186, v[82:85]
	global_wb scope:SCOPE_SE
	s_wait_dscnt 0x0
	s_barrier_signal -1
	s_barrier_wait -1
	global_inv scope:SCOPE_SE
	ds_load_2addr_b64 v[82:85], v78 offset0:96 offset1:208
	s_wait_dscnt 0x0
	v_mul_f32_e32 v151, v138, v83
	v_mul_f32_e32 v153, v138, v85
	s_delay_alu instid0(VALU_DEP_2) | instskip(NEXT) | instid1(VALU_DEP_2)
	v_fmac_f32_e32 v151, v137, v82
	v_dual_mul_f32 v82, v138, v82 :: v_dual_fmac_f32 v153, v137, v84
	s_delay_alu instid0(VALU_DEP_1) | instskip(SKIP_1) | instid1(VALU_DEP_1)
	v_fma_f32 v152, v137, v83, -v82
	v_mul_f32_e32 v82, v138, v84
	v_fma_f32 v154, v137, v85, -v82
	ds_load_2addr_b64 v[82:85], v80 offset0:64 offset1:176
	s_wait_dscnt 0x0
	v_mul_f32_e32 v155, v138, v83
	v_mul_f32_e32 v157, v138, v85
	s_delay_alu instid0(VALU_DEP_2) | instskip(NEXT) | instid1(VALU_DEP_2)
	v_fmac_f32_e32 v155, v137, v82
	v_dual_mul_f32 v82, v138, v82 :: v_dual_fmac_f32 v157, v137, v84
	s_delay_alu instid0(VALU_DEP_1) | instskip(SKIP_1) | instid1(VALU_DEP_1)
	v_fma_f32 v156, v137, v83, -v82
	v_mul_f32_e32 v82, v138, v84
	v_fma_f32 v158, v137, v85, -v82
	;; [unrolled: 11-line block ×3, first 2 shown]
	ds_load_2addr_b64 v[82:85], v77 offset1:112
	s_wait_dscnt 0x0
	v_mul_f32_e32 v167, v138, v83
	v_mul_f32_e32 v169, v138, v85
	s_delay_alu instid0(VALU_DEP_2) | instskip(NEXT) | instid1(VALU_DEP_2)
	v_fmac_f32_e32 v167, v137, v82
	v_dual_mul_f32 v82, v138, v82 :: v_dual_fmac_f32 v169, v137, v84
	s_delay_alu instid0(VALU_DEP_1) | instskip(SKIP_1) | instid1(VALU_DEP_1)
	v_fma_f32 v168, v137, v83, -v82
	v_mul_f32_e32 v82, v138, v84
	v_fma_f32 v170, v137, v85, -v82
	ds_load_2addr_b64 v[82:85], v79 offset0:128 offset1:240
	s_wait_dscnt 0x0
	v_mul_f32_e32 v88, v138, v85
	s_delay_alu instid0(VALU_DEP_1) | instskip(SKIP_1) | instid1(VALU_DEP_1)
	v_fmac_f32_e32 v88, v137, v84
	v_mul_f32_e32 v84, v138, v84
	v_fma_f32 v89, v137, v85, -v84
	ds_load_2addr_b64 v[84:87], v166 offset1:112
	s_wait_dscnt 0x0
	v_dual_sub_f32 v137, v84, v88 :: v_dual_sub_f32 v138, v85, v89
	ds_load_2addr_b64 v[88:91], v74 offset0:96 offset1:208
	ds_load_2addr_b64 v[92:95], v75 offset0:64 offset1:176
	;; [unrolled: 1-line block ×3, first 2 shown]
	global_wb scope:SCOPE_SE
	s_wait_dscnt 0x0
	s_barrier_signal -1
	v_fma_f32 v84, v84, 2.0, -v137
	v_fma_f32 v85, v85, 2.0, -v138
	s_barrier_wait -1
	global_inv scope:SCOPE_SE
	ds_store_2addr_b64 v200, v[84:85], v[137:138] offset1:2
	v_dual_sub_f32 v84, v86, v151 :: v_dual_sub_f32 v85, v87, v152
	s_delay_alu instid0(VALU_DEP_1) | instskip(NEXT) | instid1(VALU_DEP_2)
	v_fma_f32 v86, v86, 2.0, -v84
	v_fma_f32 v87, v87, 2.0, -v85
	ds_store_2addr_b64 v201, v[86:87], v[84:85] offset1:2
	v_dual_sub_f32 v84, v88, v153 :: v_dual_sub_f32 v85, v89, v154
	s_delay_alu instid0(VALU_DEP_1) | instskip(NEXT) | instid1(VALU_DEP_2)
	v_fma_f32 v86, v88, 2.0, -v84
	v_fma_f32 v87, v89, 2.0, -v85
	;; [unrolled: 5-line block ×8, first 2 shown]
	ds_store_2addr_b64 v173, v[82:83], v[84:85] offset1:2
	global_wb scope:SCOPE_SE
	s_wait_dscnt 0x0
	s_barrier_signal -1
	s_barrier_wait -1
	global_inv scope:SCOPE_SE
	ds_load_2addr_b64 v[82:85], v78 offset0:96 offset1:208
	s_wait_dscnt 0x0
	v_mul_f32_e32 v151, v142, v83
	v_mul_f32_e32 v153, v142, v85
	s_delay_alu instid0(VALU_DEP_2) | instskip(NEXT) | instid1(VALU_DEP_2)
	v_fmac_f32_e32 v151, v141, v82
	v_dual_mul_f32 v82, v142, v82 :: v_dual_fmac_f32 v153, v141, v84
	s_delay_alu instid0(VALU_DEP_1) | instskip(SKIP_1) | instid1(VALU_DEP_1)
	v_fma_f32 v152, v141, v83, -v82
	v_mul_f32_e32 v82, v142, v84
	v_fma_f32 v154, v141, v85, -v82
	ds_load_2addr_b64 v[82:85], v80 offset0:64 offset1:176
	s_wait_dscnt 0x0
	v_mul_f32_e32 v155, v142, v83
	v_mul_f32_e32 v157, v142, v85
	s_delay_alu instid0(VALU_DEP_2) | instskip(NEXT) | instid1(VALU_DEP_2)
	v_fmac_f32_e32 v155, v141, v82
	v_dual_mul_f32 v82, v142, v82 :: v_dual_fmac_f32 v157, v141, v84
	s_delay_alu instid0(VALU_DEP_1) | instskip(SKIP_1) | instid1(VALU_DEP_1)
	v_fma_f32 v156, v141, v83, -v82
	v_mul_f32_e32 v82, v142, v84
	v_fma_f32 v158, v141, v85, -v82
	;; [unrolled: 11-line block ×3, first 2 shown]
	ds_load_2addr_b64 v[82:85], v77 offset1:112
	s_wait_dscnt 0x0
	v_mul_f32_e32 v167, v142, v83
	v_mul_f32_e32 v169, v142, v85
	s_delay_alu instid0(VALU_DEP_2) | instskip(NEXT) | instid1(VALU_DEP_2)
	v_fmac_f32_e32 v167, v141, v82
	v_dual_mul_f32 v82, v142, v82 :: v_dual_fmac_f32 v169, v141, v84
	s_delay_alu instid0(VALU_DEP_1) | instskip(SKIP_1) | instid1(VALU_DEP_1)
	v_fma_f32 v168, v141, v83, -v82
	v_mul_f32_e32 v82, v142, v84
	v_fma_f32 v170, v141, v85, -v82
	ds_load_2addr_b64 v[82:85], v79 offset0:128 offset1:240
	s_wait_dscnt 0x0
	v_mul_f32_e32 v88, v142, v85
	s_delay_alu instid0(VALU_DEP_1) | instskip(SKIP_1) | instid1(VALU_DEP_1)
	v_fmac_f32_e32 v88, v141, v84
	v_mul_f32_e32 v84, v142, v84
	v_fma_f32 v89, v141, v85, -v84
	ds_load_2addr_b64 v[84:87], v166 offset1:112
	s_wait_dscnt 0x0
	v_dual_sub_f32 v137, v84, v88 :: v_dual_sub_f32 v138, v85, v89
	ds_load_2addr_b64 v[88:91], v74 offset0:96 offset1:208
	ds_load_2addr_b64 v[92:95], v75 offset0:64 offset1:176
	;; [unrolled: 1-line block ×3, first 2 shown]
	global_wb scope:SCOPE_SE
	s_wait_dscnt 0x0
	s_barrier_signal -1
	v_fma_f32 v84, v84, 2.0, -v137
	v_fma_f32 v85, v85, 2.0, -v138
	s_barrier_wait -1
	global_inv scope:SCOPE_SE
	ds_store_2addr_b64 v196, v[84:85], v[137:138] offset1:4
	v_dual_sub_f32 v84, v86, v151 :: v_dual_sub_f32 v85, v87, v152
	s_delay_alu instid0(VALU_DEP_1) | instskip(NEXT) | instid1(VALU_DEP_2)
	v_fma_f32 v86, v86, 2.0, -v84
	v_fma_f32 v87, v87, 2.0, -v85
	ds_store_2addr_b64 v197, v[86:87], v[84:85] offset1:4
	v_dual_sub_f32 v84, v88, v153 :: v_dual_sub_f32 v85, v89, v154
	s_delay_alu instid0(VALU_DEP_1) | instskip(NEXT) | instid1(VALU_DEP_2)
	v_fma_f32 v86, v88, 2.0, -v84
	v_fma_f32 v87, v89, 2.0, -v85
	;; [unrolled: 5-line block ×8, first 2 shown]
	ds_store_2addr_b64 v172, v[82:83], v[84:85] offset1:4
	global_wb scope:SCOPE_SE
	s_wait_dscnt 0x0
	s_barrier_signal -1
	s_barrier_wait -1
	global_inv scope:SCOPE_SE
	ds_load_2addr_b64 v[82:85], v78 offset0:96 offset1:208
	s_wait_dscnt 0x0
	v_mul_f32_e32 v141, v140, v83
	v_mul_f32_e32 v151, v140, v85
	s_delay_alu instid0(VALU_DEP_2) | instskip(NEXT) | instid1(VALU_DEP_2)
	v_fmac_f32_e32 v141, v139, v82
	v_dual_mul_f32 v82, v140, v82 :: v_dual_fmac_f32 v151, v139, v84
	s_delay_alu instid0(VALU_DEP_1) | instskip(SKIP_1) | instid1(VALU_DEP_1)
	v_fma_f32 v142, v139, v83, -v82
	v_mul_f32_e32 v82, v140, v84
	v_fma_f32 v152, v139, v85, -v82
	ds_load_2addr_b64 v[82:85], v80 offset0:64 offset1:176
	s_wait_dscnt 0x0
	v_mul_f32_e32 v153, v140, v83
	v_mul_f32_e32 v155, v140, v85
	s_delay_alu instid0(VALU_DEP_2) | instskip(NEXT) | instid1(VALU_DEP_2)
	v_fmac_f32_e32 v153, v139, v82
	v_dual_mul_f32 v82, v140, v82 :: v_dual_fmac_f32 v155, v139, v84
	s_delay_alu instid0(VALU_DEP_1) | instskip(SKIP_1) | instid1(VALU_DEP_1)
	v_fma_f32 v154, v139, v83, -v82
	v_mul_f32_e32 v82, v140, v84
	v_fma_f32 v156, v139, v85, -v82
	;; [unrolled: 11-line block ×3, first 2 shown]
	ds_load_2addr_b64 v[82:85], v77 offset1:112
	s_wait_dscnt 0x0
	v_mul_f32_e32 v161, v140, v83
	v_mul_f32_e32 v167, v140, v85
	s_delay_alu instid0(VALU_DEP_2) | instskip(NEXT) | instid1(VALU_DEP_2)
	v_fmac_f32_e32 v161, v139, v82
	v_dual_mul_f32 v82, v140, v82 :: v_dual_fmac_f32 v167, v139, v84
	s_delay_alu instid0(VALU_DEP_1) | instskip(SKIP_1) | instid1(VALU_DEP_1)
	v_fma_f32 v162, v139, v83, -v82
	v_mul_f32_e32 v82, v140, v84
	v_fma_f32 v168, v139, v85, -v82
	ds_load_2addr_b64 v[82:85], v79 offset0:128 offset1:240
	s_wait_dscnt 0x0
	v_mul_f32_e32 v88, v140, v85
	s_delay_alu instid0(VALU_DEP_1) | instskip(SKIP_1) | instid1(VALU_DEP_1)
	v_fmac_f32_e32 v88, v139, v84
	v_mul_f32_e32 v84, v140, v84
	v_fma_f32 v89, v139, v85, -v84
	ds_load_2addr_b64 v[84:87], v166 offset1:112
	s_wait_dscnt 0x0
	v_dual_sub_f32 v137, v84, v88 :: v_dual_sub_f32 v138, v85, v89
	ds_load_2addr_b64 v[88:91], v74 offset0:96 offset1:208
	ds_load_2addr_b64 v[92:95], v75 offset0:64 offset1:176
	;; [unrolled: 1-line block ×3, first 2 shown]
	global_wb scope:SCOPE_SE
	s_wait_dscnt 0x0
	s_barrier_signal -1
	v_fma_f32 v84, v84, 2.0, -v137
	v_fma_f32 v85, v85, 2.0, -v138
	s_barrier_wait -1
	global_inv scope:SCOPE_SE
	ds_store_2addr_b64 v194, v[84:85], v[137:138] offset1:8
	v_dual_sub_f32 v84, v86, v141 :: v_dual_sub_f32 v85, v87, v142
	s_delay_alu instid0(VALU_DEP_1) | instskip(NEXT) | instid1(VALU_DEP_2)
	v_fma_f32 v86, v86, 2.0, -v84
	v_fma_f32 v87, v87, 2.0, -v85
	ds_store_2addr_b64 v195, v[86:87], v[84:85] offset1:8
	v_dual_sub_f32 v84, v88, v151 :: v_dual_sub_f32 v85, v89, v152
	s_delay_alu instid0(VALU_DEP_1) | instskip(NEXT) | instid1(VALU_DEP_2)
	v_fma_f32 v86, v88, 2.0, -v84
	v_fma_f32 v87, v89, 2.0, -v85
	;; [unrolled: 5-line block ×8, first 2 shown]
	ds_store_2addr_b64 v171, v[82:83], v[84:85] offset1:8
	global_wb scope:SCOPE_SE
	s_wait_dscnt 0x0
	s_barrier_signal -1
	s_barrier_wait -1
	global_inv scope:SCOPE_SE
	ds_load_2addr_b64 v[82:85], v78 offset0:96 offset1:208
	s_wait_dscnt 0x0
	v_mul_f32_e32 v141, v144, v85
	v_mul_f32_e32 v139, v144, v83
	s_delay_alu instid0(VALU_DEP_2) | instskip(NEXT) | instid1(VALU_DEP_2)
	v_fmac_f32_e32 v141, v143, v84
	v_fmac_f32_e32 v139, v143, v82
	v_mul_f32_e32 v82, v144, v82
	s_delay_alu instid0(VALU_DEP_1) | instskip(SKIP_1) | instid1(VALU_DEP_1)
	v_fma_f32 v140, v143, v83, -v82
	v_mul_f32_e32 v82, v144, v84
	v_fma_f32 v142, v143, v85, -v82
	ds_load_2addr_b64 v[82:85], v80 offset0:64 offset1:176
	s_wait_dscnt 0x0
	v_mul_f32_e32 v151, v144, v83
	v_mul_f32_e32 v153, v144, v85
	s_delay_alu instid0(VALU_DEP_2) | instskip(NEXT) | instid1(VALU_DEP_2)
	v_fmac_f32_e32 v151, v143, v82
	v_dual_mul_f32 v82, v144, v82 :: v_dual_fmac_f32 v153, v143, v84
	s_delay_alu instid0(VALU_DEP_1) | instskip(SKIP_1) | instid1(VALU_DEP_1)
	v_fma_f32 v152, v143, v83, -v82
	v_mul_f32_e32 v82, v144, v84
	v_fma_f32 v154, v143, v85, -v82
	ds_load_2addr_b64 v[82:85], v76 offset0:32 offset1:144
	s_wait_dscnt 0x0
	v_mul_f32_e32 v155, v144, v83
	v_mul_f32_e32 v157, v144, v85
	s_delay_alu instid0(VALU_DEP_2) | instskip(NEXT) | instid1(VALU_DEP_2)
	v_fmac_f32_e32 v155, v143, v82
	v_dual_mul_f32 v82, v144, v82 :: v_dual_fmac_f32 v157, v143, v84
	s_delay_alu instid0(VALU_DEP_1) | instskip(SKIP_1) | instid1(VALU_DEP_1)
	v_fma_f32 v156, v143, v83, -v82
	v_mul_f32_e32 v82, v144, v84
	v_fma_f32 v158, v143, v85, -v82
	ds_load_2addr_b64 v[82:85], v77 offset1:112
	s_wait_dscnt 0x0
	v_mul_f32_e32 v159, v144, v83
	v_mul_f32_e32 v161, v144, v85
	s_delay_alu instid0(VALU_DEP_2) | instskip(NEXT) | instid1(VALU_DEP_2)
	v_fmac_f32_e32 v159, v143, v82
	v_dual_mul_f32 v82, v144, v82 :: v_dual_fmac_f32 v161, v143, v84
	s_delay_alu instid0(VALU_DEP_1) | instskip(SKIP_1) | instid1(VALU_DEP_1)
	v_fma_f32 v160, v143, v83, -v82
	v_mul_f32_e32 v82, v144, v84
	v_fma_f32 v162, v143, v85, -v82
	ds_load_2addr_b64 v[82:85], v79 offset0:128 offset1:240
	s_wait_dscnt 0x0
	v_mul_f32_e32 v88, v144, v85
	s_delay_alu instid0(VALU_DEP_1) | instskip(SKIP_1) | instid1(VALU_DEP_1)
	v_fmac_f32_e32 v88, v143, v84
	v_mul_f32_e32 v84, v144, v84
	v_fma_f32 v89, v143, v85, -v84
	ds_load_2addr_b64 v[84:87], v166 offset1:112
	s_wait_dscnt 0x0
	v_dual_sub_f32 v137, v84, v88 :: v_dual_sub_f32 v138, v85, v89
	ds_load_2addr_b64 v[88:91], v74 offset0:96 offset1:208
	ds_load_2addr_b64 v[92:95], v75 offset0:64 offset1:176
	;; [unrolled: 1-line block ×3, first 2 shown]
	global_wb scope:SCOPE_SE
	s_wait_dscnt 0x0
	s_barrier_signal -1
	v_fma_f32 v84, v84, 2.0, -v137
	v_fma_f32 v85, v85, 2.0, -v138
	s_barrier_wait -1
	global_inv scope:SCOPE_SE
	ds_store_2addr_b64 v212, v[84:85], v[137:138] offset1:16
	v_dual_sub_f32 v84, v86, v139 :: v_dual_sub_f32 v85, v87, v140
	s_delay_alu instid0(VALU_DEP_1) | instskip(NEXT) | instid1(VALU_DEP_2)
	v_fma_f32 v86, v86, 2.0, -v84
	v_fma_f32 v87, v87, 2.0, -v85
	ds_store_2addr_b64 v213, v[86:87], v[84:85] offset1:16
	v_dual_sub_f32 v84, v88, v141 :: v_dual_sub_f32 v85, v89, v142
	s_delay_alu instid0(VALU_DEP_1) | instskip(NEXT) | instid1(VALU_DEP_2)
	v_fma_f32 v86, v88, 2.0, -v84
	v_fma_f32 v87, v89, 2.0, -v85
	;; [unrolled: 5-line block ×8, first 2 shown]
	ds_store_2addr_b64 v203, v[82:83], v[84:85] offset1:16
	global_wb scope:SCOPE_SE
	s_wait_dscnt 0x0
	s_barrier_signal -1
	s_barrier_wait -1
	global_inv scope:SCOPE_SE
	ds_load_2addr_b64 v[82:85], v80 offset0:64 offset1:176
	s_wait_dscnt 0x0
	v_mul_f32_e32 v88, v3, v83
	v_mul_f32_e32 v90, v148, v85
	s_delay_alu instid0(VALU_DEP_2) | instskip(SKIP_1) | instid1(VALU_DEP_3)
	v_fmac_f32_e32 v88, v2, v82
	v_mul_f32_e32 v82, v3, v82
	v_fmac_f32_e32 v90, v150, v84
	s_delay_alu instid0(VALU_DEP_2) | instskip(SKIP_1) | instid1(VALU_DEP_1)
	v_fma_f32 v86, v2, v83, -v82
	v_mul_f32_e32 v82, v148, v84
	v_fma_f32 v91, v150, v85, -v82
	ds_load_2addr_b64 v[82:85], v79 offset0:128 offset1:240
	s_wait_dscnt 0x0
	v_mul_f32_e32 v92, v1, v83
	v_mul_f32_e32 v94, v5, v85
	s_delay_alu instid0(VALU_DEP_2) | instskip(SKIP_1) | instid1(VALU_DEP_3)
	v_dual_mul_f32 v5, v5, v84 :: v_dual_fmac_f32 v92, v0, v82
	v_mul_f32_e32 v82, v1, v82
	v_fmac_f32_e32 v94, v4, v84
	s_delay_alu instid0(VALU_DEP_3) | instskip(NEXT) | instid1(VALU_DEP_3)
	v_fma_f32 v95, v4, v85, -v5
	v_fma_f32 v93, v0, v83, -v82
	ds_load_2addr_b64 v[82:85], v76 offset0:32 offset1:144
	s_wait_dscnt 0x0
	v_mul_f32_e32 v4, v7, v84
	v_mul_f32_e32 v96, v7, v85
	;; [unrolled: 1-line block ×3, first 2 shown]
	s_delay_alu instid0(VALU_DEP_3) | instskip(SKIP_1) | instid1(VALU_DEP_4)
	v_fma_f32 v97, v6, v85, -v4
	v_mul_f32_e32 v4, v3, v82
	v_fmac_f32_e32 v96, v6, v84
	s_delay_alu instid0(VALU_DEP_4) | instskip(NEXT) | instid1(VALU_DEP_3)
	v_fmac_f32_e32 v98, v2, v82
	v_fma_f32 v99, v2, v83, -v4
	ds_load_2addr_b64 v[4:7], v77 offset1:112
	s_wait_dscnt 0x0
	v_dual_mul_f32 v82, v208, v6 :: v_dual_mul_f32 v139, v3, v5
	v_mul_f32_e32 v3, v3, v4
	v_mul_f32_e32 v137, v208, v7
	s_delay_alu instid0(VALU_DEP_3)
	v_fma_f32 v138, v147, v7, -v82
	ds_load_2addr_b64 v[82:85], v78 offset0:96 offset1:208
	v_fmac_f32_e32 v139, v2, v4
	v_fma_f32 v140, v2, v5, -v3
	ds_load_2addr_b64 v[2:5], v81 offset0:32 offset1:144
	v_fmac_f32_e32 v137, v147, v6
	s_wait_dscnt 0x1
	v_mul_f32_e32 v143, v149, v85
	v_mul_f32_e32 v141, v1, v83
	s_delay_alu instid0(VALU_DEP_2) | instskip(SKIP_1) | instid1(VALU_DEP_2)
	v_fmac_f32_e32 v143, v145, v84
	s_wait_dscnt 0x0
	v_dual_mul_f32 v6, v1, v3 :: v_dual_fmac_f32 v141, v0, v82
	s_delay_alu instid0(VALU_DEP_1) | instskip(SKIP_1) | instid1(VALU_DEP_2)
	v_fmac_f32_e32 v6, v0, v2
	v_mul_f32_e32 v2, v1, v2
	v_dual_mul_f32 v1, v1, v82 :: v_dual_sub_f32 v148, v6, v88
	s_delay_alu instid0(VALU_DEP_2) | instskip(NEXT) | instid1(VALU_DEP_2)
	v_fma_f32 v7, v0, v3, -v2
	v_fma_f32 v142, v0, v83, -v1
	s_delay_alu instid0(VALU_DEP_2) | instskip(NEXT) | instid1(VALU_DEP_1)
	v_dual_mul_f32 v0, v149, v84 :: v_dual_sub_f32 v147, v7, v86
	v_fma_f32 v144, v145, v85, -v0
	v_mul_f32_e32 v145, v146, v5
	s_delay_alu instid0(VALU_DEP_1) | instskip(SKIP_1) | instid1(VALU_DEP_1)
	v_fmac_f32_e32 v145, v198, v4
	v_mul_f32_e32 v0, v146, v4
	v_fma_f32 v146, v198, v5, -v0
	ds_load_2addr_b64 v[0:3], v166 offset1:112
	s_wait_dscnt 0x0
	v_dual_add_f32 v5, v7, v86 :: v_dual_add_f32 v4, v1, v7
	s_delay_alu instid0(VALU_DEP_1) | instskip(NEXT) | instid1(VALU_DEP_2)
	v_fma_f32 v1, -0.5, v5, v1
	v_add_f32_e32 v87, v4, v86
	v_add_f32_e32 v4, v0, v6
	s_delay_alu instid0(VALU_DEP_3) | instskip(SKIP_1) | instid1(VALU_DEP_3)
	v_fmamk_f32 v89, v148, 0x3f5db3d7, v1
	v_fmac_f32_e32 v1, 0xbf5db3d7, v148
	v_add_f32_e32 v86, v4, v88
	v_add_f32_e32 v4, v6, v88
	s_delay_alu instid0(VALU_DEP_1)
	v_fma_f32 v0, -0.5, v4, v0
	ds_load_2addr_b64 v[4:7], v74 offset0:96 offset1:208
	ds_load_2addr_b64 v[82:85], v75 offset0:64 offset1:176
	global_wb scope:SCOPE_SE
	s_wait_dscnt 0x0
	s_barrier_signal -1
	s_barrier_wait -1
	v_fmamk_f32 v88, v147, 0xbf5db3d7, v0
	v_fmac_f32_e32 v0, 0x3f5db3d7, v147
	global_inv scope:SCOPE_SE
	ds_store_2addr_b64 v219, v[86:87], v[88:89] offset1:32
	ds_store_b64 v219, v[0:1] offset:512
	v_dual_add_f32 v0, v145, v90 :: v_dual_add_f32 v87, v146, v91
	v_add_f32_e32 v86, v2, v145
	v_dual_sub_f32 v88, v146, v91 :: v_dual_sub_f32 v89, v145, v90
	s_delay_alu instid0(VALU_DEP_3) | instskip(NEXT) | instid1(VALU_DEP_4)
	v_fma_f32 v2, -0.5, v0, v2
	v_dual_add_f32 v0, v3, v146 :: v_dual_fmac_f32 v3, -0.5, v87
	s_delay_alu instid0(VALU_DEP_1) | instskip(NEXT) | instid1(VALU_DEP_3)
	v_dual_add_f32 v1, v0, v91 :: v_dual_add_f32 v0, v86, v90
	v_fmamk_f32 v86, v88, 0xbf5db3d7, v2
	s_delay_alu instid0(VALU_DEP_3)
	v_dual_fmamk_f32 v87, v89, 0x3f5db3d7, v3 :: v_dual_fmac_f32 v2, 0x3f5db3d7, v88
	v_fmac_f32_e32 v3, 0xbf5db3d7, v89
	ds_store_2addr_b64 v218, v[0:1], v[86:87] offset1:32
	v_add_f32_e32 v0, v5, v93
	ds_store_b64 v218, v[2:3] offset:512
	v_dual_add_f32 v3, v93, v99 :: v_dual_add_f32 v2, v92, v98
	v_sub_f32_e32 v86, v93, v99
	v_add_f32_e32 v1, v0, v99
	v_add_f32_e32 v0, v4, v92
	s_delay_alu instid0(VALU_DEP_4) | instskip(SKIP_2) | instid1(VALU_DEP_4)
	v_fma_f32 v3, -0.5, v3, v5
	v_fma_f32 v2, -0.5, v2, v4
	v_sub_f32_e32 v87, v92, v98
	v_add_f32_e32 v0, v0, v98
	s_delay_alu instid0(VALU_DEP_3) | instskip(NEXT) | instid1(VALU_DEP_3)
	v_fmamk_f32 v4, v86, 0xbf5db3d7, v2
	v_dual_fmamk_f32 v5, v87, 0x3f5db3d7, v3 :: v_dual_fmac_f32 v2, 0x3f5db3d7, v86
	v_fmac_f32_e32 v3, 0xbf5db3d7, v87
	ds_store_2addr_b64 v217, v[0:1], v[4:5] offset1:32
	v_add_f32_e32 v0, v94, v96
	ds_store_b64 v217, v[2:3] offset:512
	v_dual_add_f32 v3, v95, v97 :: v_dual_add_f32 v2, v6, v94
	v_sub_f32_e32 v4, v95, v97
	v_fma_f32 v6, -0.5, v0, v6
	v_add_f32_e32 v0, v7, v95
	s_delay_alu instid0(VALU_DEP_4) | instskip(SKIP_1) | instid1(VALU_DEP_3)
	v_fmac_f32_e32 v7, -0.5, v3
	v_sub_f32_e32 v5, v94, v96
	v_dual_add_f32 v1, v0, v97 :: v_dual_add_f32 v0, v2, v96
	v_fmamk_f32 v2, v4, 0xbf5db3d7, v6
	s_delay_alu instid0(VALU_DEP_3)
	v_dual_fmamk_f32 v3, v5, 0x3f5db3d7, v7 :: v_dual_fmac_f32 v6, 0x3f5db3d7, v4
	v_fmac_f32_e32 v7, 0xbf5db3d7, v5
	ds_store_2addr_b64 v216, v[0:1], v[2:3] offset1:32
	v_dual_add_f32 v0, v83, v142 :: v_dual_add_f32 v3, v142, v140
	v_add_f32_e32 v2, v141, v139
	ds_store_b64 v216, v[6:7] offset:512
	v_sub_f32_e32 v6, v142, v140
	v_dual_add_f32 v1, v0, v140 :: v_dual_add_f32 v0, v82, v141
	v_fma_f32 v2, -0.5, v2, v82
	v_fma_f32 v3, -0.5, v3, v83
	v_sub_f32_e32 v7, v141, v139
	s_delay_alu instid0(VALU_DEP_4) | instskip(NEXT) | instid1(VALU_DEP_4)
	v_add_f32_e32 v0, v0, v139
	v_fmamk_f32 v4, v6, 0xbf5db3d7, v2
	s_delay_alu instid0(VALU_DEP_3)
	v_dual_fmac_f32 v2, 0x3f5db3d7, v6 :: v_dual_fmamk_f32 v5, v7, 0x3f5db3d7, v3
	v_fmac_f32_e32 v3, 0xbf5db3d7, v7
	ds_store_2addr_b64 v215, v[0:1], v[4:5] offset1:32
	v_add_f32_e32 v0, v143, v137
	ds_store_b64 v215, v[2:3] offset:512
	v_dual_add_f32 v2, v84, v143 :: v_dual_add_f32 v1, v85, v144
	v_sub_f32_e32 v4, v144, v138
	v_fma_f32 v84, -0.5, v0, v84
	v_dual_add_f32 v0, v144, v138 :: v_dual_sub_f32 v5, v143, v137
	s_delay_alu instid0(VALU_DEP_4) | instskip(NEXT) | instid1(VALU_DEP_2)
	v_add_f32_e32 v1, v1, v138
	v_dual_fmac_f32 v85, -0.5, v0 :: v_dual_add_f32 v0, v2, v137
	s_delay_alu instid0(VALU_DEP_4) | instskip(NEXT) | instid1(VALU_DEP_2)
	v_fmamk_f32 v2, v4, 0xbf5db3d7, v84
	v_dual_fmac_f32 v84, 0x3f5db3d7, v4 :: v_dual_fmamk_f32 v3, v5, 0x3f5db3d7, v85
	v_fmac_f32_e32 v85, 0xbf5db3d7, v5
	ds_store_2addr_b64 v214, v[0:1], v[2:3] offset1:32
	ds_store_b64 v214, v[84:85] offset:512
	global_wb scope:SCOPE_SE
	s_wait_dscnt 0x0
	s_barrier_signal -1
	s_barrier_wait -1
	global_inv scope:SCOPE_SE
	ds_load_2addr_b64 v[0:3], v81 offset0:32 offset1:144
	ds_load_2addr_b64 v[4:7], v80 offset0:64 offset1:176
	s_wait_dscnt 0x1
	v_mul_f32_e32 v81, v65, v1
	s_delay_alu instid0(VALU_DEP_1) | instskip(SKIP_2) | instid1(VALU_DEP_1)
	v_fmac_f32_e32 v81, v64, v0
	s_wait_dscnt 0x0
	v_dual_mul_f32 v0, v65, v0 :: v_dual_mul_f32 v65, v67, v5
	v_fma_f32 v64, v64, v1, -v0
	v_dual_mul_f32 v0, v67, v4 :: v_dual_mul_f32 v67, v61, v3
	s_delay_alu instid0(VALU_DEP_3) | instskip(NEXT) | instid1(VALU_DEP_2)
	v_fmac_f32_e32 v65, v66, v4
	v_fma_f32 v66, v66, v5, -v0
	s_delay_alu instid0(VALU_DEP_3) | instskip(SKIP_1) | instid1(VALU_DEP_1)
	v_fmac_f32_e32 v67, v60, v2
	v_dual_mul_f32 v0, v61, v2 :: v_dual_mul_f32 v61, v63, v7
	v_fma_f32 v60, v60, v3, -v0
	v_mul_f32_e32 v0, v63, v6
	s_delay_alu instid0(VALU_DEP_3) | instskip(NEXT) | instid1(VALU_DEP_2)
	v_fmac_f32_e32 v61, v62, v6
	v_fma_f32 v62, v62, v7, -v0
	ds_load_2addr_b64 v[0:3], v79 offset0:128 offset1:240
	s_wait_dscnt 0x0
	v_mul_f32_e32 v63, v53, v1
	v_mul_f32_e32 v4, v53, v0
	s_delay_alu instid0(VALU_DEP_2) | instskip(NEXT) | instid1(VALU_DEP_2)
	v_fmac_f32_e32 v63, v52, v0
	v_fma_f32 v52, v52, v1, -v4
	ds_load_2addr_b64 v[4:7], v76 offset0:32 offset1:144
	s_wait_dscnt 0x0
	v_mul_f32_e32 v53, v55, v5
	v_dual_mul_f32 v0, v55, v4 :: v_dual_mul_f32 v55, v41, v3
	s_delay_alu instid0(VALU_DEP_2) | instskip(NEXT) | instid1(VALU_DEP_2)
	v_fmac_f32_e32 v53, v54, v4
	v_fma_f32 v54, v54, v5, -v0
	v_mul_f32_e32 v0, v41, v2
	s_delay_alu instid0(VALU_DEP_4) | instskip(SKIP_1) | instid1(VALU_DEP_3)
	v_fmac_f32_e32 v55, v40, v2
	v_mul_f32_e32 v41, v43, v7
	v_fma_f32 v40, v40, v3, -v0
	v_mul_f32_e32 v0, v43, v6
	s_delay_alu instid0(VALU_DEP_3) | instskip(NEXT) | instid1(VALU_DEP_2)
	v_fmac_f32_e32 v41, v42, v6
	v_fma_f32 v42, v42, v7, -v0
	ds_load_2addr_b64 v[0:3], v78 offset0:96 offset1:208
	s_wait_dscnt 0x0
	v_mul_f32_e32 v4, v25, v0
	v_mul_f32_e32 v43, v25, v1
	;; [unrolled: 1-line block ×3, first 2 shown]
	s_delay_alu instid0(VALU_DEP_3)
	v_fma_f32 v76, v24, v1, -v4
	ds_load_2addr_b64 v[4:7], v77 offset1:112
	v_fmac_f32_e32 v43, v24, v0
	v_fmac_f32_e32 v82, v20, v2
	s_wait_dscnt 0x0
	v_dual_add_f32 v1, v64, v66 :: v_dual_mul_f32 v0, v27, v4
	v_mul_f32_e32 v77, v27, v5
	v_mul_f32_e32 v84, v23, v7
	s_delay_alu instid0(VALU_DEP_3) | instskip(NEXT) | instid1(VALU_DEP_3)
	v_fma_f32 v80, v26, v5, -v0
	v_dual_mul_f32 v0, v21, v2 :: v_dual_fmac_f32 v77, v26, v4
	s_delay_alu instid0(VALU_DEP_3) | instskip(NEXT) | instid1(VALU_DEP_2)
	v_fmac_f32_e32 v84, v22, v6
	v_fma_f32 v83, v20, v3, -v0
	ds_load_2addr_b64 v[2:5], v166 offset1:112
	v_mul_f32_e32 v0, v23, v6
	s_delay_alu instid0(VALU_DEP_1) | instskip(SKIP_3) | instid1(VALU_DEP_2)
	v_fma_f32 v85, v22, v7, -v0
	v_add_f32_e32 v0, v81, v65
	s_wait_dscnt 0x0
	v_add_f32_e32 v20, v3, v64
	v_fma_f32 v6, -0.5, v0, v2
	v_add_f32_e32 v0, v2, v81
	v_fma_f32 v7, -0.5, v1, v3
	v_sub_f32_e32 v81, v81, v65
	v_add_f32_e32 v25, v20, v66
	s_delay_alu instid0(VALU_DEP_4)
	v_add_f32_e32 v24, v0, v65
	ds_load_2addr_b64 v[20:23], v74 offset0:96 offset1:208
	ds_load_2addr_b64 v[0:3], v75 offset0:64 offset1:176
	v_dual_sub_f32 v64, v64, v66 :: v_dual_fmamk_f32 v27, v81, 0x3f5db3d7, v7
	v_fmac_f32_e32 v7, 0xbf5db3d7, v81
	global_wb scope:SCOPE_SE
	s_wait_dscnt 0x0
	s_barrier_signal -1
	v_fmamk_f32 v26, v64, 0xbf5db3d7, v6
	v_fmac_f32_e32 v6, 0x3f5db3d7, v64
	s_barrier_wait -1
	global_inv scope:SCOPE_SE
	ds_store_2addr_b64 v226, v[24:25], v[26:27] offset1:96
	ds_store_b64 v226, v[6:7] offset:1536
	v_dual_add_f32 v6, v67, v61 :: v_dual_add_f32 v7, v60, v62
	v_add_f32_e32 v24, v4, v67
	v_dual_sub_f32 v26, v60, v62 :: v_dual_sub_f32 v27, v67, v61
	s_delay_alu instid0(VALU_DEP_3) | instskip(NEXT) | instid1(VALU_DEP_4)
	v_fma_f32 v4, -0.5, v6, v4
	v_dual_add_f32 v6, v5, v60 :: v_dual_fmac_f32 v5, -0.5, v7
	s_delay_alu instid0(VALU_DEP_1) | instskip(SKIP_1) | instid1(VALU_DEP_4)
	v_dual_add_f32 v60, v63, v53 :: v_dual_add_f32 v7, v6, v62
	v_add_f32_e32 v6, v24, v61
	v_fmamk_f32 v24, v26, 0xbf5db3d7, v4
	s_delay_alu instid0(VALU_DEP_4)
	v_dual_fmamk_f32 v25, v27, 0x3f5db3d7, v5 :: v_dual_fmac_f32 v4, 0x3f5db3d7, v26
	v_fmac_f32_e32 v5, 0xbf5db3d7, v27
	v_dual_add_f32 v27, v40, v42 :: v_dual_add_f32 v26, v22, v55
	ds_store_2addr_b64 v225, v[6:7], v[24:25] offset1:96
	v_add_f32_e32 v7, v52, v54
	v_fma_f32 v6, -0.5, v60, v20
	v_sub_f32_e32 v24, v52, v54
	ds_store_b64 v225, v[4:5] offset:1536
	v_add_f32_e32 v5, v20, v63
	v_fma_f32 v7, -0.5, v7, v21
	v_dual_sub_f32 v25, v63, v53 :: v_dual_fmamk_f32 v4, v24, 0xbf5db3d7, v6
	v_fmac_f32_e32 v6, 0x3f5db3d7, v24
	s_delay_alu instid0(VALU_DEP_4) | instskip(NEXT) | instid1(VALU_DEP_3)
	v_add_f32_e32 v20, v5, v53
	v_dual_add_f32 v24, v55, v41 :: v_dual_fmamk_f32 v5, v25, 0x3f5db3d7, v7
	v_fmac_f32_e32 v7, 0xbf5db3d7, v25
	v_add_f32_e32 v25, v23, v40
	v_add_f32_e32 v21, v21, v52
	s_delay_alu instid0(VALU_DEP_4) | instskip(SKIP_1) | instid1(VALU_DEP_4)
	v_fma_f32 v22, -0.5, v24, v22
	v_dual_sub_f32 v52, v40, v42 :: v_dual_fmac_f32 v23, -0.5, v27
	v_dual_add_f32 v27, v25, v42 :: v_dual_add_f32 v42, v43, v77
	s_delay_alu instid0(VALU_DEP_4) | instskip(NEXT) | instid1(VALU_DEP_3)
	v_dual_add_f32 v21, v21, v54 :: v_dual_sub_f32 v40, v55, v41
	v_fmamk_f32 v24, v52, 0xbf5db3d7, v22
	v_fmac_f32_e32 v22, 0x3f5db3d7, v52
	v_add_f32_e32 v52, v0, v43
	v_add_f32_e32 v53, v76, v80
	v_sub_f32_e32 v54, v76, v80
	v_fma_f32 v0, -0.5, v42, v0
	v_dual_add_f32 v26, v26, v41 :: v_dual_fmamk_f32 v25, v40, 0x3f5db3d7, v23
	v_add_f32_e32 v41, v1, v76
	v_dual_fmac_f32 v23, 0xbf5db3d7, v40 :: v_dual_add_f32 v40, v52, v77
	v_fma_f32 v1, -0.5, v53, v1
	v_sub_f32_e32 v52, v43, v77
	v_fmamk_f32 v42, v54, 0xbf5db3d7, v0
	v_add_f32_e32 v43, v82, v84
	v_dual_add_f32 v53, v83, v85 :: v_dual_fmac_f32 v0, 0x3f5db3d7, v54
	v_dual_add_f32 v54, v3, v83 :: v_dual_add_f32 v55, v2, v82
	s_delay_alu instid0(VALU_DEP_3) | instskip(NEXT) | instid1(VALU_DEP_3)
	v_fma_f32 v2, -0.5, v43, v2
	v_fmac_f32_e32 v3, -0.5, v53
	v_sub_f32_e32 v53, v83, v85
	s_delay_alu instid0(VALU_DEP_4) | instskip(SKIP_4) | instid1(VALU_DEP_4)
	v_add_f32_e32 v75, v54, v85
	v_sub_f32_e32 v54, v82, v84
	v_add_f32_e32 v41, v41, v80
	v_dual_fmamk_f32 v43, v52, 0x3f5db3d7, v1 :: v_dual_add_f32 v74, v55, v84
	v_dual_fmac_f32 v1, 0xbf5db3d7, v52 :: v_dual_fmamk_f32 v76, v53, 0xbf5db3d7, v2
	v_dual_fmac_f32 v2, 0x3f5db3d7, v53 :: v_dual_fmamk_f32 v77, v54, 0x3f5db3d7, v3
	v_fmac_f32_e32 v3, 0xbf5db3d7, v54
	ds_store_2addr_b64 v224, v[20:21], v[4:5] offset1:96
	ds_store_b64 v224, v[6:7] offset:1536
	ds_store_2addr_b64 v222, v[26:27], v[24:25] offset1:96
	ds_store_b64 v222, v[22:23] offset:1536
	;; [unrolled: 2-line block ×4, first 2 shown]
	v_add_nc_u32_e32 v21, 0x1000, v166
	v_add_nc_u32_e32 v20, 0x800, v166
	global_wb scope:SCOPE_SE
	s_wait_dscnt 0x0
	s_barrier_signal -1
	s_barrier_wait -1
	global_inv scope:SCOPE_SE
	ds_load_2addr_b64 v[4:7], v166 offset1:112
	ds_load_2addr_b64 v[52:55], v20 offset0:32 offset1:144
	v_add_nc_u32_e32 v20, 0x2c00, v166
	v_add_nc_u32_e32 v22, 0x3400, v166
	ds_load_2addr_b64 v[64:67], v21 offset0:64 offset1:176
	ds_load_2addr_b64 v[60:63], v79 offset0:96 offset1:208
	;; [unrolled: 1-line block ×5, first 2 shown]
	s_and_saveexec_b32 s0, vcc_lo
	s_cbranch_execz .LBB0_7
; %bb.6:
	ds_load_b64 v[0:1], v166 offset:1792
	ds_load_b64 v[74:75], v166 offset:4096
	;; [unrolled: 1-line block ×7, first 2 shown]
.LBB0_7:
	s_wait_alu 0xfffe
	s_or_b32 exec_lo, exec_lo, s0
	s_wait_dscnt 0x5
	v_mul_f32_e32 v78, v57, v53
	v_mul_f32_e32 v57, v57, v52
	s_wait_dscnt 0x4
	v_mul_f32_e32 v79, v59, v65
	v_mul_f32_e32 v59, v59, v64
	v_fmac_f32_e32 v78, v56, v52
	v_fma_f32 v52, v56, v53, -v57
	s_wait_dscnt 0x3
	v_dual_fmac_f32 v79, v58, v64 :: v_dual_mul_f32 v56, v45, v61
	v_fma_f32 v53, v58, v65, -v59
	s_wait_dscnt 0x2
	v_mul_f32_e32 v57, v47, v41
	s_wait_dscnt 0x1
	v_dual_mul_f32 v47, v47, v40 :: v_dual_mul_f32 v58, v29, v25
	v_fmac_f32_e32 v56, v44, v60
	s_delay_alu instid0(VALU_DEP_3) | instskip(NEXT) | instid1(VALU_DEP_3)
	v_fmac_f32_e32 v57, v46, v40
	v_fma_f32 v40, v46, v41, -v47
	s_delay_alu instid0(VALU_DEP_4)
	v_dual_fmac_f32 v58, v28, v24 :: v_dual_mul_f32 v41, v49, v55
	s_wait_dscnt 0x0
	v_dual_mul_f32 v24, v29, v24 :: v_dual_mul_f32 v29, v31, v21
	v_mul_f32_e32 v31, v31, v20
	v_dual_mul_f32 v46, v51, v67 :: v_dual_mul_f32 v45, v45, v60
	v_fmac_f32_e32 v41, v48, v54
	s_delay_alu instid0(VALU_DEP_4)
	v_fma_f32 v24, v28, v25, -v24
	v_fmac_f32_e32 v29, v30, v20
	v_fma_f32 v20, v30, v21, -v31
	v_mul_f32_e32 v21, v51, v66
	v_dual_mul_f32 v47, v37, v63 :: v_dual_fmac_f32 v46, v50, v66
	v_fma_f32 v44, v44, v61, -v45
	v_mul_f32_e32 v45, v49, v54
	v_mul_f32_e32 v25, v37, v62
	;; [unrolled: 1-line block ×4, first 2 shown]
	v_dual_fmac_f32 v47, v36, v62 :: v_dual_sub_f32 v30, v57, v56
	v_fma_f32 v45, v48, v55, -v45
	v_fma_f32 v48, v50, v67, -v21
	v_mul_f32_e32 v21, v39, v42
	v_mul_f32_e32 v39, v33, v27
	v_fma_f32 v36, v36, v63, -v25
	v_mul_f32_e32 v25, v33, v26
	v_sub_f32_e32 v31, v40, v44
	s_delay_alu instid0(VALU_DEP_4) | instskip(SKIP_4) | instid1(VALU_DEP_4)
	v_dual_fmac_f32 v39, v32, v26 :: v_dual_add_f32 v26, v53, v24
	v_mul_f32_e32 v33, v35, v23
	v_fma_f32 v35, v38, v43, -v21
	v_fma_f32 v32, v32, v27, -v25
	v_dual_add_f32 v25, v79, v58 :: v_dual_sub_f32 v24, v53, v24
	v_fmac_f32_e32 v33, v34, v22
	v_fma_f32 v34, v34, v23, -v28
	v_add_f32_e32 v28, v56, v57
	v_add_f32_e32 v21, v78, v29
	v_dual_fmac_f32 v37, v38, v42 :: v_dual_add_f32 v22, v52, v20
	v_sub_f32_e32 v20, v52, v20
	s_delay_alu instid0(VALU_DEP_3) | instskip(SKIP_3) | instid1(VALU_DEP_3)
	v_sub_f32_e32 v42, v25, v21
	v_add_f32_e32 v38, v25, v21
	v_sub_f32_e32 v21, v21, v28
	v_sub_f32_e32 v25, v28, v25
	v_dual_add_f32 v28, v28, v38 :: v_dual_sub_f32 v23, v78, v29
	v_dual_add_f32 v29, v44, v40 :: v_dual_add_f32 v40, v26, v22
	s_delay_alu instid0(VALU_DEP_2) | instskip(NEXT) | instid1(VALU_DEP_2)
	v_dual_add_f32 v4, v4, v28 :: v_dual_sub_f32 v43, v26, v22
	v_sub_f32_e32 v22, v22, v29
	s_delay_alu instid0(VALU_DEP_2) | instskip(NEXT) | instid1(VALU_DEP_2)
	v_fmamk_f32 v28, v28, 0xbf955555, v4
	v_mul_f32_e32 v22, 0x3f4a47b2, v22
	v_sub_f32_e32 v26, v29, v26
	s_delay_alu instid0(VALU_DEP_1) | instskip(NEXT) | instid1(VALU_DEP_1)
	v_dual_add_f32 v29, v29, v40 :: v_dual_mul_f32 v40, 0x3d64c772, v26
	v_dual_add_f32 v5, v5, v29 :: v_dual_fmamk_f32 v26, v26, 0x3d64c772, v22
	v_dual_sub_f32 v27, v79, v58 :: v_dual_mul_f32 v38, 0x3d64c772, v25
	s_delay_alu instid0(VALU_DEP_3) | instskip(NEXT) | instid1(VALU_DEP_3)
	v_fma_f32 v40, 0x3f3bfb3b, v43, -v40
	v_fmamk_f32 v29, v29, 0xbf955555, v5
	s_delay_alu instid0(VALU_DEP_3) | instskip(SKIP_4) | instid1(VALU_DEP_4)
	v_dual_sub_f32 v51, v31, v24 :: v_dual_add_f32 v44, v30, v27
	v_sub_f32_e32 v50, v30, v27
	v_sub_f32_e32 v27, v27, v23
	;; [unrolled: 1-line block ×3, first 2 shown]
	v_fma_f32 v38, 0x3f3bfb3b, v42, -v38
	v_dual_add_f32 v23, v44, v23 :: v_dual_mul_f32 v44, 0x3f08b237, v50
	v_add_f32_e32 v49, v31, v24
	v_mul_f32_e32 v21, 0x3f4a47b2, v21
	v_mul_f32_e32 v50, 0xbf5ff5aa, v27
	v_sub_f32_e32 v31, v20, v31
	v_sub_f32_e32 v24, v24, v20
	v_fma_f32 v22, 0xbf3bfb3b, v43, -v22
	v_fmamk_f32 v25, v25, 0x3d64c772, v21
	v_fma_f32 v21, 0xbf3bfb3b, v42, -v21
	v_fmamk_f32 v42, v30, 0xbeae86e6, v44
	v_add_f32_e32 v20, v49, v20
	v_fma_f32 v30, 0x3eae86e6, v30, -v50
	v_add_f32_e32 v50, v26, v29
	v_dual_add_f32 v26, v38, v28 :: v_dual_mul_f32 v49, 0x3f08b237, v51
	v_add_f32_e32 v38, v40, v29
	v_fma_f32 v27, 0xbf5ff5aa, v27, -v44
	v_dual_mul_f32 v51, 0xbf5ff5aa, v24 :: v_dual_add_f32 v40, v45, v34
	s_delay_alu instid0(VALU_DEP_4) | instskip(SKIP_1) | instid1(VALU_DEP_2)
	v_fma_f32 v44, 0xbf5ff5aa, v24, -v49
	v_sub_f32_e32 v34, v45, v34
	v_fmac_f32_e32 v44, 0xbee1c552, v20
	s_delay_alu instid0(VALU_DEP_1)
	v_dual_sub_f32 v24, v26, v44 :: v_dual_fmamk_f32 v43, v31, 0xbeae86e6, v49
	v_add_f32_e32 v49, v25, v28
	v_add_f32_e32 v28, v21, v28
	v_fmac_f32_e32 v42, 0xbee1c552, v23
	v_fmac_f32_e32 v27, 0xbee1c552, v23
	v_fma_f32 v31, 0x3eae86e6, v31, -v51
	s_delay_alu instid0(VALU_DEP_3) | instskip(NEXT) | instid1(VALU_DEP_3)
	v_dual_fmac_f32 v30, 0xbee1c552, v23 :: v_dual_sub_f32 v21, v50, v42
	v_add_f32_e32 v25, v27, v38
	v_dual_add_f32 v26, v44, v26 :: v_dual_sub_f32 v27, v38, v27
	v_dual_add_f32 v38, v41, v33 :: v_dual_fmac_f32 v43, 0xbee1c552, v20
	v_dual_sub_f32 v33, v41, v33 :: v_dual_add_f32 v44, v36, v35
	v_add_f32_e32 v29, v22, v29
	v_add_f32_e32 v41, v46, v39
	s_delay_alu instid0(VALU_DEP_4) | instskip(SKIP_1) | instid1(VALU_DEP_4)
	v_dual_fmac_f32 v31, 0xbee1c552, v20 :: v_dual_add_f32 v20, v43, v49
	v_sub_f32_e32 v35, v35, v36
	v_sub_f32_e32 v23, v29, v30
	v_dual_add_f32 v29, v30, v29 :: v_dual_sub_f32 v30, v49, v43
	v_dual_add_f32 v43, v47, v37 :: v_dual_add_f32 v36, v41, v38
	v_add_f32_e32 v22, v31, v28
	v_sub_f32_e32 v28, v28, v31
	v_sub_f32_e32 v39, v46, v39
	s_delay_alu instid0(VALU_DEP_4) | instskip(SKIP_2) | instid1(VALU_DEP_3)
	v_dual_sub_f32 v37, v37, v47 :: v_dual_add_f32 v36, v43, v36
	v_dual_add_f32 v31, v42, v50 :: v_dual_add_f32 v42, v48, v32
	v_sub_f32_e32 v32, v48, v32
	v_add_f32_e32 v6, v6, v36
	s_delay_alu instid0(VALU_DEP_3)
	v_add_f32_e32 v45, v42, v40
	v_sub_f32_e32 v47, v42, v40
	v_sub_f32_e32 v40, v40, v44
	;; [unrolled: 1-line block ×3, first 2 shown]
	v_dual_sub_f32 v46, v41, v38 :: v_dual_add_f32 v49, v35, v32
	v_dual_sub_f32 v51, v35, v32 :: v_dual_sub_f32 v32, v32, v34
	v_add_f32_e32 v48, v37, v39
	v_sub_f32_e32 v50, v37, v39
	v_dual_sub_f32 v38, v38, v43 :: v_dual_sub_f32 v41, v43, v41
	v_dual_sub_f32 v37, v33, v37 :: v_dual_mul_f32 v40, 0x3f4a47b2, v40
	v_sub_f32_e32 v39, v39, v33
	v_dual_sub_f32 v35, v34, v35 :: v_dual_fmamk_f32 v36, v36, 0xbf955555, v6
	s_delay_alu instid0(VALU_DEP_4)
	v_dual_add_f32 v33, v48, v33 :: v_dual_mul_f32 v38, 0x3f4a47b2, v38
	v_dual_mul_f32 v48, 0x3f08b237, v50 :: v_dual_add_f32 v43, v44, v45
	v_add_f32_e32 v34, v49, v34
	v_dual_mul_f32 v44, 0x3d64c772, v41 :: v_dual_mul_f32 v45, 0x3d64c772, v42
	v_fmamk_f32 v42, v42, 0x3d64c772, v40
	v_mul_f32_e32 v50, 0xbf5ff5aa, v39
	v_mul_f32_e32 v49, 0x3f08b237, v51
	v_fmamk_f32 v41, v41, 0x3d64c772, v38
	v_fma_f32 v44, 0x3f3bfb3b, v46, -v44
	v_fma_f32 v45, 0x3f3bfb3b, v47, -v45
	v_mul_f32_e32 v51, 0xbf5ff5aa, v32
	v_fma_f32 v38, 0xbf3bfb3b, v46, -v38
	v_fmamk_f32 v46, v37, 0xbeae86e6, v48
	v_fma_f32 v39, 0xbf5ff5aa, v39, -v48
	v_fma_f32 v48, 0xbf5ff5aa, v32, -v49
	v_add_f32_e32 v7, v7, v43
	v_fma_f32 v40, 0xbf3bfb3b, v47, -v40
	s_delay_alu instid0(VALU_DEP_3)
	v_fmac_f32_e32 v48, 0xbee1c552, v34
	v_fmamk_f32 v47, v35, 0xbeae86e6, v49
	v_fma_f32 v49, 0x3eae86e6, v37, -v50
	v_fma_f32 v50, 0x3eae86e6, v35, -v51
	v_add_f32_e32 v51, v41, v36
	v_add_f32_e32 v41, v44, v36
	;; [unrolled: 1-line block ×3, first 2 shown]
	s_delay_alu instid0(VALU_DEP_4) | instskip(NEXT) | instid1(VALU_DEP_3)
	v_fmac_f32_e32 v50, 0xbee1c552, v34
	v_dual_fmamk_f32 v43, v43, 0xbf955555, v7 :: v_dual_sub_f32 v36, v41, v48
	s_delay_alu instid0(VALU_DEP_1) | instskip(SKIP_4) | instid1(VALU_DEP_2)
	v_add_f32_e32 v52, v42, v43
	v_add_f32_e32 v42, v45, v43
	;; [unrolled: 1-line block ×3, first 2 shown]
	v_fmac_f32_e32 v49, 0xbee1c552, v33
	v_fmac_f32_e32 v46, 0xbee1c552, v33
	v_dual_sub_f32 v40, v44, v50 :: v_dual_sub_f32 v35, v43, v49
	v_dual_add_f32 v38, v48, v41 :: v_dual_fmac_f32 v47, 0xbee1c552, v34
	v_fmac_f32_e32 v39, 0xbee1c552, v33
	s_delay_alu instid0(VALU_DEP_4) | instskip(SKIP_1) | instid1(VALU_DEP_4)
	v_dual_sub_f32 v33, v52, v46 :: v_dual_add_f32 v34, v50, v44
	v_add_f32_e32 v41, v49, v43
	v_add_f32_e32 v32, v47, v51
	s_delay_alu instid0(VALU_DEP_4)
	v_add_f32_e32 v37, v39, v42
	v_sub_f32_e32 v39, v42, v39
	v_dual_sub_f32 v42, v51, v47 :: v_dual_add_f32 v43, v46, v52
	ds_store_b64 v166, v[4:5]
	ds_store_b64 v223, v[20:21] offset:2304
	ds_store_b64 v223, v[22:23] offset:4608
	;; [unrolled: 1-line block ×13, first 2 shown]
	s_and_saveexec_b32 s0, vcc_lo
	s_cbranch_execz .LBB0_9
; %bb.8:
	v_dual_mul_f32 v4, v11, v69 :: v_dual_mul_f32 v5, v9, v3
	v_dual_mul_f32 v6, v13, v75 :: v_dual_mul_f32 v7, v19, v73
	v_mul_f32_e32 v19, v19, v72
	s_delay_alu instid0(VALU_DEP_3) | instskip(SKIP_1) | instid1(VALU_DEP_4)
	v_dual_fmac_f32 v4, v10, v68 :: v_dual_fmac_f32 v5, v8, v2
	v_dual_mul_f32 v2, v9, v2 :: v_dual_mul_f32 v9, v11, v68
	v_dual_mul_f32 v20, v15, v77 :: v_dual_fmac_f32 v7, v18, v72
	v_fmac_f32_e32 v6, v12, v74
	v_dual_mul_f32 v22, v17, v71 :: v_dual_mul_f32 v15, v15, v76
	v_fma_f32 v18, v18, v73, -v19
	v_mul_f32_e32 v13, v13, v74
	v_fma_f32 v2, v8, v3, -v2
	v_fma_f32 v3, v10, v69, -v9
	v_mul_f32_e32 v17, v17, v70
	v_dual_sub_f32 v21, v4, v5 :: v_dual_fmac_f32 v20, v14, v76
	v_fma_f32 v12, v12, v75, -v13
	v_fma_f32 v13, v14, v77, -v15
	v_add_f32_e32 v14, v2, v3
	v_fma_f32 v11, v16, v71, -v17
	v_fmac_f32_e32 v22, v16, v70
	v_add_f32_e32 v8, v18, v12
	v_dual_sub_f32 v15, v6, v7 :: v_dual_sub_f32 v12, v12, v18
	s_delay_alu instid0(VALU_DEP_3) | instskip(NEXT) | instid1(VALU_DEP_3)
	v_dual_add_f32 v9, v11, v13 :: v_dual_sub_f32 v10, v20, v22
	v_sub_f32_e32 v19, v8, v14
	v_add_f32_e32 v6, v7, v6
	v_add_f32_e32 v4, v5, v4
	s_delay_alu instid0(VALU_DEP_4) | instskip(SKIP_3) | instid1(VALU_DEP_3)
	v_add_f32_e32 v16, v9, v8
	v_sub_f32_e32 v17, v21, v10
	v_mul_f32_e32 v19, 0x3f4a47b2, v19
	v_dual_sub_f32 v11, v13, v11 :: v_dual_sub_f32 v2, v3, v2
	v_dual_add_f32 v16, v14, v16 :: v_dual_mul_f32 v17, 0x3f08b237, v17
	v_sub_f32_e32 v14, v14, v9
	s_delay_alu instid0(VALU_DEP_2) | instskip(SKIP_2) | instid1(VALU_DEP_4)
	v_dual_sub_f32 v18, v2, v11 :: v_dual_add_f32 v1, v1, v16
	v_sub_f32_e32 v23, v15, v21
	v_add_f32_e32 v21, v21, v10
	v_dual_fmamk_f32 v25, v14, 0x3d64c772, v19 :: v_dual_mul_f32 v14, 0x3d64c772, v14
	s_delay_alu instid0(VALU_DEP_4) | instskip(NEXT) | instid1(VALU_DEP_3)
	v_fmamk_f32 v16, v16, 0xbf955555, v1
	v_dual_fmamk_f32 v24, v23, 0xbeae86e6, v17 :: v_dual_add_f32 v21, v21, v15
	v_dual_add_f32 v7, v22, v20 :: v_dual_sub_f32 v22, v12, v2
	v_mul_f32_e32 v18, 0x3f08b237, v18
	s_delay_alu instid0(VALU_DEP_3) | instskip(NEXT) | instid1(VALU_DEP_3)
	v_fmac_f32_e32 v24, 0xbee1c552, v21
	v_dual_add_f32 v20, v25, v16 :: v_dual_add_f32 v5, v7, v6
	v_sub_f32_e32 v13, v6, v4
	s_delay_alu instid0(VALU_DEP_2) | instskip(NEXT) | instid1(VALU_DEP_3)
	v_add_f32_e32 v3, v24, v20
	v_add_f32_e32 v5, v4, v5
	s_delay_alu instid0(VALU_DEP_3) | instskip(SKIP_1) | instid1(VALU_DEP_2)
	v_dual_sub_f32 v4, v4, v7 :: v_dual_mul_f32 v13, 0x3f4a47b2, v13
	v_add_f32_e32 v2, v2, v11
	v_dual_sub_f32 v10, v10, v15 :: v_dual_fmamk_f32 v15, v4, 0x3d64c772, v13
	s_delay_alu instid0(VALU_DEP_2) | instskip(NEXT) | instid1(VALU_DEP_1)
	v_dual_add_f32 v0, v0, v5 :: v_dual_add_f32 v27, v2, v12
	v_dual_sub_f32 v6, v7, v6 :: v_dual_fmamk_f32 v25, v5, 0xbf955555, v0
	s_delay_alu instid0(VALU_DEP_3) | instskip(SKIP_1) | instid1(VALU_DEP_3)
	v_dual_mul_f32 v2, 0xbf5ff5aa, v10 :: v_dual_sub_f32 v5, v11, v12
	v_sub_f32_e32 v8, v9, v8
	v_dual_fmamk_f32 v26, v22, 0xbeae86e6, v18 :: v_dual_add_f32 v15, v15, v25
	s_delay_alu instid0(VALU_DEP_3) | instskip(NEXT) | instid1(VALU_DEP_4)
	v_fma_f32 v11, 0x3eae86e6, v23, -v2
	v_mul_f32_e32 v7, 0xbf5ff5aa, v5
	s_delay_alu instid0(VALU_DEP_4) | instskip(NEXT) | instid1(VALU_DEP_3)
	v_fma_f32 v9, 0xbf3bfb3b, v8, -v19
	v_dual_fmac_f32 v26, 0xbee1c552, v27 :: v_dual_fmac_f32 v11, 0xbee1c552, v21
	s_delay_alu instid0(VALU_DEP_3) | instskip(SKIP_2) | instid1(VALU_DEP_3)
	v_fma_f32 v19, 0x3eae86e6, v22, -v7
	v_fma_f32 v7, 0x3f3bfb3b, v8, -v14
	;; [unrolled: 1-line block ×3, first 2 shown]
	v_fmac_f32_e32 v19, 0xbee1c552, v27
	v_fma_f32 v12, 0xbf3bfb3b, v6, -v13
	s_delay_alu instid0(VALU_DEP_3)
	v_fmac_f32_e32 v8, 0xbee1c552, v21
	v_add_f32_e32 v10, v9, v16
	v_add_f32_e32 v9, v7, v16
	v_sub_f32_e32 v2, v15, v26
	v_add_f32_e32 v14, v12, v25
	v_fma_f32 v16, 0xbf5ff5aa, v5, -v18
	v_sub_f32_e32 v13, v20, v24
	v_sub_f32_e32 v7, v9, v8
	v_dual_add_f32 v9, v8, v9 :: v_dual_mul_f32 v4, 0x3d64c772, v4
	s_delay_alu instid0(VALU_DEP_4) | instskip(SKIP_2) | instid1(VALU_DEP_4)
	v_dual_add_f32 v5, v11, v10 :: v_dual_fmac_f32 v16, 0xbee1c552, v27
	v_add_f32_e32 v12, v26, v15
	v_sub_f32_e32 v11, v10, v11
	v_fma_f32 v6, 0x3f3bfb3b, v6, -v4
	v_sub_f32_e32 v4, v14, v19
	v_add_f32_e32 v10, v19, v14
	s_delay_alu instid0(VALU_DEP_3) | instskip(NEXT) | instid1(VALU_DEP_1)
	v_add_f32_e32 v6, v6, v25
	v_sub_f32_e32 v8, v6, v16
	v_add_f32_e32 v6, v16, v6
	ds_store_b64 v166, v[0:1] offset:1792
	ds_store_b64 v223, v[12:13] offset:4096
	;; [unrolled: 1-line block ×7, first 2 shown]
.LBB0_9:
	s_wait_alu 0xfffe
	s_or_b32 exec_lo, exec_lo, s0
	global_wb scope:SCOPE_SE
	s_wait_dscnt 0x0
	s_barrier_signal -1
	s_barrier_wait -1
	global_inv scope:SCOPE_SE
	ds_load_2addr_b64 v[0:3], v166 offset1:112
	v_add_nc_u32_e32 v4, 0x1800, v166
	v_add_nc_u32_e32 v8, 0x2000, v166
	v_mad_co_u64_u32 v[16:17], null, s6, v100, 0
	v_mad_co_u64_u32 v[18:19], null, s4, v165, 0
	s_mov_b32 s0, 0x10410410
	s_mov_b32 s1, 0x3f404104
	s_movk_i32 s8, 0xe400
	s_mov_b32 s9, -1
	s_delay_alu instid0(VALU_DEP_1)
	v_mad_co_u64_u32 v[36:37], null, s7, v100, v[17:18]
	s_mul_u64 s[6:7], s[4:5], 0x1f80
	s_wait_dscnt 0x0
	v_mul_f32_e32 v21, v130, v0
	ds_load_2addr_b64 v[4:7], v4 offset0:128 offset1:240
	ds_load_2addr_b64 v[8:11], v8 offset0:96 offset1:208
	v_mul_f32_e32 v20, v130, v1
	v_mul_f32_e32 v24, v136, v3
	;; [unrolled: 1-line block ×3, first 2 shown]
	v_add_nc_u32_e32 v12, 0x400, v166
	s_delay_alu instid0(VALU_DEP_4)
	v_fmac_f32_e32 v20, v129, v0
	v_fma_f32 v0, v129, v1, -v21
	s_wait_dscnt 0x1
	v_mul_f32_e32 v25, v134, v6
	v_dual_mul_f32 v1, v134, v7 :: v_dual_fmac_f32 v24, v135, v2
	v_fma_f32 v2, v135, v3, -v22
	v_cvt_f64_f32_e32 v[22:23], v0
	s_delay_alu instid0(VALU_DEP_4)
	v_fma_f32 v0, v133, v7, -v25
	v_add_nc_u32_e32 v7, 0xc00, v166
	v_cvt_f64_f32_e32 v[20:21], v20
	s_wait_dscnt 0x0
	v_mul_f32_e32 v3, v132, v9
	ds_load_2addr_b64 v[12:15], v12 offset0:96 offset1:208
	v_dual_mul_f32 v26, v132, v8 :: v_dual_mul_f32 v39, v118, v10
	v_fmac_f32_e32 v1, v133, v6
	v_fmac_f32_e32 v3, v131, v8
	v_cvt_f64_f32_e32 v[28:29], v0
	s_delay_alu instid0(VALU_DEP_4)
	v_fma_f32 v6, v131, v9, -v26
	v_cvt_f64_f32_e32 v[30:31], v2
	v_cvt_f64_f32_e32 v[26:27], v1
	;; [unrolled: 1-line block ×3, first 2 shown]
	v_add_nc_u32_e32 v0, 0x2800, v166
	v_cvt_f64_f32_e32 v[34:35], v6
	s_wait_dscnt 0x0
	v_mul_f32_e32 v17, v124, v13
	v_cvt_f64_f32_e32 v[24:25], v24
	s_delay_alu instid0(VALU_DEP_2) | instskip(NEXT) | instid1(VALU_DEP_1)
	v_dual_mul_f32 v40, v122, v15 :: v_dual_fmac_f32 v17, v123, v12
	v_fmac_f32_e32 v40, v121, v14
	s_wait_alu 0xfffe
	v_mul_f64_e32 v[22:23], s[0:1], v[22:23]
	v_mad_co_u64_u32 v[37:38], null, s5, v165, v[19:20]
	v_mul_f32_e32 v19, v124, v12
	ds_load_2addr_b64 v[0:3], v0 offset0:64 offset1:176
	ds_load_2addr_b64 v[6:9], v7 offset0:64 offset1:176
	v_mul_f32_e32 v38, v118, v11
	v_mul_f32_e32 v41, v122, v14
	v_mul_f64_e32 v[20:21], s[0:1], v[20:21]
	v_fma_f32 v12, v123, v13, -v19
	v_fma_f32 v19, v117, v11, -v39
	v_mul_f64_e32 v[28:29], s[0:1], v[28:29]
	v_mul_f64_e32 v[26:27], s[0:1], v[26:27]
	;; [unrolled: 1-line block ×3, first 2 shown]
	v_cvt_f64_f32_e32 v[12:13], v12
	v_mul_f64_e32 v[32:33], s[0:1], v[32:33]
	v_mul_f64_e32 v[34:35], s[0:1], v[34:35]
	s_wait_dscnt 0x1
	v_mul_f32_e32 v42, v128, v1
	s_wait_dscnt 0x0
	v_dual_mul_f32 v43, v128, v0 :: v_dual_mul_f32 v44, v126, v7
	v_mul_f32_e32 v45, v126, v6
	v_fmac_f32_e32 v38, v117, v10
	v_cvt_f64_f32_e32 v[10:11], v17
	v_fma_f32 v17, v121, v15, -v41
	v_fmac_f32_e32 v42, v127, v0
	v_fma_f32 v43, v127, v1, -v43
	v_fma_f32 v46, v125, v7, -v45
	v_cvt_f64_f32_e32 v[0:1], v38
	v_cvt_f64_f32_e32 v[14:15], v40
	;; [unrolled: 1-line block ×3, first 2 shown]
	v_dual_mov_b32 v17, v36 :: v_dual_fmac_f32 v44, v125, v6
	v_cvt_f64_f32_e32 v[6:7], v19
	v_mul_f64_e32 v[24:25], s[0:1], v[24:25]
	v_cvt_f64_f32_e32 v[40:41], v42
	v_dual_mov_b32 v19, v37 :: v_dual_mul_f32 v36, v120, v3
	v_mul_f32_e32 v37, v120, v2
	v_cvt_f64_f32_e32 v[42:43], v43
	v_lshlrev_b64_e32 v[16:17], 3, v[16:17]
	s_delay_alu instid0(VALU_DEP_4)
	v_lshlrev_b64_e32 v[18:19], 3, v[18:19]
	v_fmac_f32_e32 v36, v119, v2
	v_fma_f32 v48, v119, v3, -v37
	v_cvt_f64_f32_e32 v[46:47], v46
	v_add_co_u32 v56, vcc_lo, s2, v16
	s_wait_alu 0xfffd
	v_add_co_ci_u32_e32 v57, vcc_lo, s3, v17, vcc_lo
	v_cvt_f64_f32_e32 v[16:17], v36
	s_mul_u64 s[2:3], s[4:5], s[8:9]
	v_mul_f64_e32 v[2:3], s[0:1], v[10:11]
	v_mul_f64_e32 v[10:11], s[0:1], v[12:13]
	v_cvt_f32_f64_e32 v12, v[20:21]
	v_cvt_f32_f64_e32 v13, v[22:23]
	v_cvt_f32_f64_e32 v22, v[26:27]
	v_cvt_f32_f64_e32 v23, v[28:29]
	v_mul_f64_e32 v[14:15], s[0:1], v[14:15]
	v_cvt_f32_f64_e32 v21, v[30:31]
	v_mul_f64_e32 v[28:29], s[0:1], v[38:39]
	v_mul_f64_e32 v[26:27], s[0:1], v[0:1]
	;; [unrolled: 1-line block ×3, first 2 shown]
	v_cvt_f32_f64_e32 v20, v[24:25]
	v_cvt_f32_f64_e32 v24, v[32:33]
	;; [unrolled: 1-line block ×3, first 2 shown]
	v_mul_f64_e32 v[30:31], s[0:1], v[40:41]
	v_add_co_u32 v0, vcc_lo, v56, v18
	s_wait_alu 0xfffd
	v_add_co_ci_u32_e32 v1, vcc_lo, v57, v19, vcc_lo
	v_mul_f64_e32 v[32:33], s[0:1], v[42:43]
	s_delay_alu instid0(VALU_DEP_3) | instskip(SKIP_1) | instid1(VALU_DEP_3)
	v_add_co_u32 v38, vcc_lo, v0, s6
	s_wait_alu 0xfffd
	v_add_co_ci_u32_e32 v39, vcc_lo, s7, v1, vcc_lo
	v_mul_f64_e32 v[36:37], s[0:1], v[46:47]
	s_wait_alu 0xfffe
	v_add_co_u32 v40, vcc_lo, v38, s2
	s_wait_alu 0xfffd
	v_add_co_ci_u32_e32 v41, vcc_lo, s3, v39, vcc_lo
	v_add_nc_u32_e32 v46, 0x3000, v166
	s_delay_alu instid0(VALU_DEP_3) | instskip(SKIP_1) | instid1(VALU_DEP_3)
	v_add_co_u32 v42, vcc_lo, v40, s6
	s_wait_alu 0xfffd
	v_add_co_ci_u32_e32 v43, vcc_lo, s7, v41, vcc_lo
	s_clause 0x3
	global_store_b64 v[0:1], v[12:13], off
	global_store_b64 v[38:39], v[22:23], off
	;; [unrolled: 1-line block ×4, first 2 shown]
	v_cvt_f32_f64_e32 v23, v[6:7]
	v_cvt_f32_f64_e32 v6, v[14:15]
	v_dual_mul_f32 v14, v114, v9 :: v_dual_add_nc_u32 v15, 0x3800, v166
	v_cvt_f32_f64_e32 v7, v[28:29]
	v_cvt_f32_f64_e32 v24, v[30:31]
	v_mul_f64_e32 v[28:29], s[0:1], v[16:17]
	s_delay_alu instid0(VALU_DEP_4)
	v_fmac_f32_e32 v14, v113, v8
	v_cvt_f64_f32_e32 v[18:19], v48
	v_cvt_f32_f64_e32 v22, v[26:27]
	v_cvt_f32_f64_e32 v25, v[32:33]
	v_add_co_u32 v20, vcc_lo, v42, s2
	v_cvt_f64_f32_e32 v[30:31], v14
	ds_load_2addr_b64 v[14:17], v15 offset1:112
	v_cvt_f32_f64_e32 v27, v[36:37]
	s_wait_alu 0xfffd
	v_add_co_ci_u32_e32 v21, vcc_lo, s3, v43, vcc_lo
	v_mul_f32_e32 v42, v104, v5
	v_mul_f32_e32 v43, v104, v4
	s_delay_alu instid0(VALU_DEP_2) | instskip(NEXT) | instid1(VALU_DEP_2)
	v_fmac_f32_e32 v42, v103, v4
	v_fma_f32 v43, v103, v5, -v43
	s_wait_dscnt 0x0
	v_mul_f32_e32 v47, v106, v16
	v_cvt_f64_f32_e32 v[44:45], v44
	v_mul_f32_e32 v40, v102, v15
	s_delay_alu instid0(VALU_DEP_3) | instskip(NEXT) | instid1(VALU_DEP_2)
	v_fma_f32 v48, v105, v17, -v47
	v_fmac_f32_e32 v40, v101, v14
	v_mul_f32_e32 v14, v102, v14
	s_delay_alu instid0(VALU_DEP_3) | instskip(SKIP_1) | instid1(VALU_DEP_3)
	v_cvt_f64_f32_e32 v[48:49], v48
	v_mul_f64_e32 v[18:19], s[0:1], v[18:19]
	v_fma_f32 v14, v101, v15, -v14
	v_cvt_f64_f32_e32 v[40:41], v40
	v_mul_f64_e32 v[30:31], s[0:1], v[30:31]
	s_delay_alu instid0(VALU_DEP_3)
	v_cvt_f64_f32_e32 v[4:5], v14
	v_cvt_f64_f32_e32 v[14:15], v42
	;; [unrolled: 1-line block ×3, first 2 shown]
	v_mul_f64_e32 v[34:35], s[0:1], v[44:45]
	v_cvt_f32_f64_e32 v45, v[10:11]
	v_add_nc_u32_e32 v10, 0x1400, v166
	v_cvt_f32_f64_e32 v44, v[2:3]
	ds_load_2addr_b64 v[0:3], v46 offset0:32 offset1:144
	v_mul_f32_e32 v46, v106, v17
	ds_load_2addr_b64 v[10:13], v10 offset0:32 offset1:144
	v_mul_f32_e32 v8, v114, v8
	v_fmac_f32_e32 v46, v105, v16
	v_add_co_u32 v16, vcc_lo, v20, s6
	s_wait_alu 0xfffd
	v_add_co_ci_u32_e32 v17, vcc_lo, s7, v21, vcc_lo
	s_delay_alu instid0(VALU_DEP_3) | instskip(NEXT) | instid1(VALU_DEP_3)
	v_cvt_f64_f32_e32 v[46:47], v46
	v_add_co_u32 v50, vcc_lo, v16, s2
	s_wait_alu 0xfffd
	s_delay_alu instid0(VALU_DEP_3) | instskip(SKIP_1) | instid1(VALU_DEP_3)
	v_add_co_ci_u32_e32 v51, vcc_lo, s3, v17, vcc_lo
	v_mul_f64_e32 v[4:5], s[0:1], v[4:5]
	v_add_co_u32 v52, vcc_lo, v50, s6
	s_wait_alu 0xfffd
	s_delay_alu instid0(VALU_DEP_3)
	v_add_co_ci_u32_e32 v53, vcc_lo, s7, v51, vcc_lo
	s_wait_dscnt 0x1
	v_dual_mul_f32 v32, v116, v1 :: v_dual_mul_f32 v37, v110, v2
	v_dual_mul_f32 v36, v110, v3 :: v_dual_mul_f32 v33, v116, v0
	s_wait_dscnt 0x0
	v_mul_f32_e32 v38, v108, v13
	s_delay_alu instid0(VALU_DEP_3)
	v_fmac_f32_e32 v32, v115, v0
	v_fma_f32 v37, v109, v3, -v37
	v_fmac_f32_e32 v36, v109, v2
	v_fma_f32 v33, v115, v1, -v33
	v_fmac_f32_e32 v38, v107, v12
	v_mul_f32_e32 v12, v108, v12
	v_add_co_u32 v54, vcc_lo, v52, s2
	v_cvt_f32_f64_e32 v26, v[34:35]
	v_mul_f32_e32 v34, v112, v11
	v_mul_f32_e32 v35, v112, v10
	v_fma_f32 v8, v113, v9, -v8
	v_cvt_f64_f32_e32 v[2:3], v36
	v_cvt_f64_f32_e32 v[36:37], v37
	v_fmac_f32_e32 v34, v111, v10
	v_fma_f32 v35, v111, v11, -v35
	v_cvt_f64_f32_e32 v[0:1], v8
	v_cvt_f64_f32_e32 v[8:9], v32
	;; [unrolled: 1-line block ×5, first 2 shown]
	v_fma_f32 v12, v107, v13, -v12
	v_cvt_f64_f32_e32 v[38:39], v38
	s_wait_alu 0xfffd
	v_add_co_ci_u32_e32 v55, vcc_lo, s3, v53, vcc_lo
	global_store_b64 v[20:21], v[44:45], off
	global_store_b64 v[16:17], v[22:23], off
	;; [unrolled: 1-line block ×5, first 2 shown]
	v_cvt_f64_f32_e32 v[12:13], v12
	v_cvt_f32_f64_e32 v7, v[18:19]
	v_mul_f64_e32 v[18:19], s[0:1], v[40:41]
	v_mul_f64_e32 v[14:15], s[0:1], v[14:15]
	;; [unrolled: 1-line block ×7, first 2 shown]
	v_cvt_f32_f64_e32 v6, v[28:29]
	v_add_co_u32 v22, vcc_lo, v54, s6
	v_mul_f64_e32 v[0:1], s[0:1], v[0:1]
	v_mul_f64_e32 v[8:9], s[0:1], v[8:9]
	;; [unrolled: 1-line block ×6, first 2 shown]
	s_wait_alu 0xfffd
	v_add_co_ci_u32_e32 v23, vcc_lo, s7, v55, vcc_lo
	v_cvt_f32_f64_e32 v28, v[30:31]
	v_mad_co_u64_u32 v[38:39], null, s4, v164, 0
	v_mul_f64_e32 v[12:13], s[0:1], v[12:13]
	v_cvt_f32_f64_e32 v14, v[14:15]
	v_cvt_f32_f64_e32 v15, v[20:21]
	;; [unrolled: 1-line block ×9, first 2 shown]
	v_add_co_u32 v0, vcc_lo, v22, s2
	s_wait_alu 0xfffd
	v_add_co_ci_u32_e32 v1, vcc_lo, s3, v23, vcc_lo
	v_mad_co_u64_u32 v[34:35], null, s4, v163, 0
	s_delay_alu instid0(VALU_DEP_3) | instskip(SKIP_1) | instid1(VALU_DEP_3)
	v_add_co_u32 v30, vcc_lo, v0, s6
	s_wait_alu 0xfffd
	v_add_co_ci_u32_e32 v31, vcc_lo, s7, v1, vcc_lo
	v_cvt_f32_f64_e32 v16, v[16:17]
	s_delay_alu instid0(VALU_DEP_3) | instskip(SKIP_1) | instid1(VALU_DEP_3)
	v_add_co_u32 v32, vcc_lo, v30, s2
	s_wait_alu 0xfffd
	v_add_co_ci_u32_e32 v33, vcc_lo, s3, v31, vcc_lo
	global_store_b64 v[22:23], v[6:7], off
	global_store_b64 v[0:1], v[28:29], off
	global_store_b64 v[30:31], v[8:9], off
	v_cvt_f32_f64_e32 v17, v[12:13]
	v_cvt_f32_f64_e32 v12, v[18:19]
	;; [unrolled: 1-line block ×3, first 2 shown]
	v_add_co_u32 v36, vcc_lo, v32, s6
	v_cvt_f32_f64_e32 v18, v[24:25]
	v_cvt_f32_f64_e32 v19, v[26:27]
	v_dual_mov_b32 v4, v35 :: v_dual_mov_b32 v5, v39
	s_wait_alu 0xfffd
	v_add_co_ci_u32_e32 v37, vcc_lo, s7, v33, vcc_lo
	v_add_co_u32 v20, vcc_lo, v36, s2
	s_delay_alu instid0(VALU_DEP_3) | instskip(SKIP_1) | instid1(VALU_DEP_3)
	v_mad_co_u64_u32 v[24:25], null, s5, v163, v[4:5]
	s_wait_alu 0xfffd
	v_add_co_ci_u32_e32 v21, vcc_lo, s3, v37, vcc_lo
	v_mad_co_u64_u32 v[4:5], null, s5, v164, v[5:6]
	global_store_b64 v[32:33], v[10:11], off
	v_mad_co_u64_u32 v[25:26], null, 0x2300, s4, v[20:21]
	v_mov_b32_e32 v35, v24
	global_store_b64 v[36:37], v[2:3], off
	v_mov_b32_e32 v39, v4
	v_lshlrev_b64_e32 v[1:2], 3, v[34:35]
	v_mov_b32_e32 v0, v26
	s_delay_alu instid0(VALU_DEP_3) | instskip(NEXT) | instid1(VALU_DEP_2)
	v_lshlrev_b64_e32 v[3:4], 3, v[38:39]
	v_mad_co_u64_u32 v[5:6], null, 0x2300, s5, v[0:1]
	v_add_co_u32 v0, vcc_lo, v56, v1
	s_wait_alu 0xfffd
	v_add_co_ci_u32_e32 v1, vcc_lo, v57, v2, vcc_lo
	s_delay_alu instid0(VALU_DEP_4)
	v_add_co_u32 v2, vcc_lo, v56, v3
	s_wait_alu 0xfffd
	v_add_co_ci_u32_e32 v3, vcc_lo, v57, v4, vcc_lo
	v_mov_b32_e32 v26, v5
	global_store_b64 v[20:21], v[16:17], off
	s_clause 0x1
	global_store_b64 v[0:1], v[12:13], off
	global_store_b64 v[2:3], v[14:15], off
	;; [unrolled: 1-line block ×3, first 2 shown]
.LBB0_10:
	s_nop 0
	s_sendmsg sendmsg(MSG_DEALLOC_VGPRS)
	s_endpgm
	.section	.rodata,"a",@progbits
	.p2align	6, 0x0
	.amdhsa_kernel bluestein_single_fwd_len2016_dim1_sp_op_CI_CI
		.amdhsa_group_segment_fixed_size 32256
		.amdhsa_private_segment_fixed_size 0
		.amdhsa_kernarg_size 104
		.amdhsa_user_sgpr_count 2
		.amdhsa_user_sgpr_dispatch_ptr 0
		.amdhsa_user_sgpr_queue_ptr 0
		.amdhsa_user_sgpr_kernarg_segment_ptr 1
		.amdhsa_user_sgpr_dispatch_id 0
		.amdhsa_user_sgpr_private_segment_size 0
		.amdhsa_wavefront_size32 1
		.amdhsa_uses_dynamic_stack 0
		.amdhsa_enable_private_segment 0
		.amdhsa_system_sgpr_workgroup_id_x 1
		.amdhsa_system_sgpr_workgroup_id_y 0
		.amdhsa_system_sgpr_workgroup_id_z 0
		.amdhsa_system_sgpr_workgroup_info 0
		.amdhsa_system_vgpr_workitem_id 0
		.amdhsa_next_free_vgpr 255
		.amdhsa_next_free_sgpr 20
		.amdhsa_reserve_vcc 1
		.amdhsa_float_round_mode_32 0
		.amdhsa_float_round_mode_16_64 0
		.amdhsa_float_denorm_mode_32 3
		.amdhsa_float_denorm_mode_16_64 3
		.amdhsa_fp16_overflow 0
		.amdhsa_workgroup_processor_mode 1
		.amdhsa_memory_ordered 1
		.amdhsa_forward_progress 0
		.amdhsa_round_robin_scheduling 0
		.amdhsa_exception_fp_ieee_invalid_op 0
		.amdhsa_exception_fp_denorm_src 0
		.amdhsa_exception_fp_ieee_div_zero 0
		.amdhsa_exception_fp_ieee_overflow 0
		.amdhsa_exception_fp_ieee_underflow 0
		.amdhsa_exception_fp_ieee_inexact 0
		.amdhsa_exception_int_div_zero 0
	.end_amdhsa_kernel
	.text
.Lfunc_end0:
	.size	bluestein_single_fwd_len2016_dim1_sp_op_CI_CI, .Lfunc_end0-bluestein_single_fwd_len2016_dim1_sp_op_CI_CI
                                        ; -- End function
	.section	.AMDGPU.csdata,"",@progbits
; Kernel info:
; codeLenInByte = 21296
; NumSgprs: 22
; NumVgprs: 255
; ScratchSize: 0
; MemoryBound: 0
; FloatMode: 240
; IeeeMode: 1
; LDSByteSize: 32256 bytes/workgroup (compile time only)
; SGPRBlocks: 2
; VGPRBlocks: 31
; NumSGPRsForWavesPerEU: 22
; NumVGPRsForWavesPerEU: 255
; Occupancy: 5
; WaveLimiterHint : 1
; COMPUTE_PGM_RSRC2:SCRATCH_EN: 0
; COMPUTE_PGM_RSRC2:USER_SGPR: 2
; COMPUTE_PGM_RSRC2:TRAP_HANDLER: 0
; COMPUTE_PGM_RSRC2:TGID_X_EN: 1
; COMPUTE_PGM_RSRC2:TGID_Y_EN: 0
; COMPUTE_PGM_RSRC2:TGID_Z_EN: 0
; COMPUTE_PGM_RSRC2:TIDIG_COMP_CNT: 0
	.text
	.p2alignl 7, 3214868480
	.fill 96, 4, 3214868480
	.type	__hip_cuid_e798cac4178224f0,@object ; @__hip_cuid_e798cac4178224f0
	.section	.bss,"aw",@nobits
	.globl	__hip_cuid_e798cac4178224f0
__hip_cuid_e798cac4178224f0:
	.byte	0                               ; 0x0
	.size	__hip_cuid_e798cac4178224f0, 1

	.ident	"AMD clang version 19.0.0git (https://github.com/RadeonOpenCompute/llvm-project roc-6.4.0 25133 c7fe45cf4b819c5991fe208aaa96edf142730f1d)"
	.section	".note.GNU-stack","",@progbits
	.addrsig
	.addrsig_sym __hip_cuid_e798cac4178224f0
	.amdgpu_metadata
---
amdhsa.kernels:
  - .args:
      - .actual_access:  read_only
        .address_space:  global
        .offset:         0
        .size:           8
        .value_kind:     global_buffer
      - .actual_access:  read_only
        .address_space:  global
        .offset:         8
        .size:           8
        .value_kind:     global_buffer
      - .actual_access:  read_only
        .address_space:  global
        .offset:         16
        .size:           8
        .value_kind:     global_buffer
      - .actual_access:  read_only
        .address_space:  global
        .offset:         24
        .size:           8
        .value_kind:     global_buffer
      - .actual_access:  read_only
        .address_space:  global
        .offset:         32
        .size:           8
        .value_kind:     global_buffer
      - .offset:         40
        .size:           8
        .value_kind:     by_value
      - .address_space:  global
        .offset:         48
        .size:           8
        .value_kind:     global_buffer
      - .address_space:  global
        .offset:         56
        .size:           8
        .value_kind:     global_buffer
      - .address_space:  global
        .offset:         64
        .size:           8
        .value_kind:     global_buffer
      - .address_space:  global
        .offset:         72
        .size:           8
        .value_kind:     global_buffer
      - .offset:         80
        .size:           4
        .value_kind:     by_value
      - .address_space:  global
        .offset:         88
        .size:           8
        .value_kind:     global_buffer
      - .address_space:  global
        .offset:         96
        .size:           8
        .value_kind:     global_buffer
    .group_segment_fixed_size: 32256
    .kernarg_segment_align: 8
    .kernarg_segment_size: 104
    .language:       OpenCL C
    .language_version:
      - 2
      - 0
    .max_flat_workgroup_size: 224
    .name:           bluestein_single_fwd_len2016_dim1_sp_op_CI_CI
    .private_segment_fixed_size: 0
    .sgpr_count:     22
    .sgpr_spill_count: 0
    .symbol:         bluestein_single_fwd_len2016_dim1_sp_op_CI_CI.kd
    .uniform_work_group_size: 1
    .uses_dynamic_stack: false
    .vgpr_count:     255
    .vgpr_spill_count: 0
    .wavefront_size: 32
    .workgroup_processor_mode: 1
amdhsa.target:   amdgcn-amd-amdhsa--gfx1201
amdhsa.version:
  - 1
  - 2
...

	.end_amdgpu_metadata
